;; amdgpu-corpus repo=ROCm/rocFFT kind=compiled arch=gfx1030 opt=O3
	.text
	.amdgcn_target "amdgcn-amd-amdhsa--gfx1030"
	.amdhsa_code_object_version 6
	.protected	bluestein_single_fwd_len364_dim1_sp_op_CI_CI ; -- Begin function bluestein_single_fwd_len364_dim1_sp_op_CI_CI
	.globl	bluestein_single_fwd_len364_dim1_sp_op_CI_CI
	.p2align	8
	.type	bluestein_single_fwd_len364_dim1_sp_op_CI_CI,@function
bluestein_single_fwd_len364_dim1_sp_op_CI_CI: ; @bluestein_single_fwd_len364_dim1_sp_op_CI_CI
; %bb.0:
	s_load_dwordx4 s[0:3], s[4:5], 0x28
	v_mul_u32_u24_e32 v1, 0x4ed, v0
	v_mov_b32_e32 v47, 0
	v_lshrrev_b32_e32 v1, 16, v1
	v_add_nc_u32_e32 v46, s6, v1
	s_waitcnt lgkmcnt(0)
	v_cmp_gt_u64_e32 vcc_lo, s[0:1], v[46:47]
	s_and_saveexec_b32 s0, vcc_lo
	s_cbranch_execz .LBB0_23
; %bb.1:
	v_mul_lo_u16 v1, v1, 52
	s_clause 0x1
	s_load_dwordx2 s[14:15], s[4:5], 0x0
	s_load_dwordx2 s[12:13], s[4:5], 0x38
	v_sub_nc_u16 v0, v0, v1
	v_and_b32_e32 v59, 0xffff, v0
	v_cmp_gt_u16_e32 vcc_lo, 28, v0
	v_lshlrev_b32_e32 v57, 3, v59
	v_or_b32_e32 v58, 0xe0, v59
	s_and_saveexec_b32 s1, vcc_lo
	s_cbranch_execz .LBB0_3
; %bb.2:
	s_load_dwordx2 s[6:7], s[4:5], 0x18
	s_waitcnt lgkmcnt(0)
	s_load_dwordx4 s[8:11], s[6:7], 0x0
	s_waitcnt lgkmcnt(0)
	v_mad_u64_u32 v[0:1], null, s10, v46, 0
	v_mad_u64_u32 v[2:3], null, s8, v59, 0
	s_mul_i32 s6, s9, 0xe0
	s_mul_hi_u32 s7, s8, 0xe0
	s_mul_i32 s10, s8, 0xe0
	s_add_i32 s7, s7, s6
	v_mad_u64_u32 v[4:5], null, s11, v46, v[1:2]
	v_mad_u64_u32 v[5:6], null, s9, v59, v[3:4]
	s_clause 0x2
	global_load_dwordx2 v[6:7], v57, s[14:15]
	global_load_dwordx2 v[8:9], v57, s[14:15] offset:224
	global_load_dwordx2 v[15:16], v57, s[14:15] offset:1792
	v_mov_b32_e32 v1, v4
	v_mov_b32_e32 v3, v5
	v_lshlrev_b64 v[0:1], 3, v[0:1]
	v_lshlrev_b64 v[2:3], 3, v[2:3]
	v_add_co_u32 v23, s0, s2, v0
	v_add_co_ci_u32_e64 v24, s0, s3, v1, s0
	v_mad_u64_u32 v[0:1], null, s8, v58, 0
	v_add_co_u32 v2, s0, v23, v2
	v_add_co_ci_u32_e64 v3, s0, v24, v3, s0
	v_add_co_u32 v4, s0, v2, s10
	v_add_co_ci_u32_e64 v5, s0, s7, v3, s0
	v_mad_u64_u32 v[12:13], null, s9, v58, v[1:2]
	v_add_co_u32 v10, s0, v4, s10
	v_add_co_ci_u32_e64 v11, s0, s7, v5, s0
	v_add_co_u32 v13, s0, v10, s10
	v_add_co_ci_u32_e64 v14, s0, s7, v11, s0
	v_mov_b32_e32 v1, v12
	v_add_co_u32 v17, s0, v13, s10
	v_add_co_ci_u32_e64 v18, s0, s7, v14, s0
	v_lshlrev_b64 v[0:1], 3, v[0:1]
	v_add_co_u32 v19, s0, v17, s10
	v_add_co_ci_u32_e64 v20, s0, s7, v18, s0
	v_add_co_u32 v21, s0, v19, s10
	v_add_co_ci_u32_e64 v22, s0, s7, v20, s0
	;; [unrolled: 2-line block ×4, first 2 shown]
	s_clause 0x2
	global_load_dwordx2 v[0:1], v[0:1], off
	global_load_dwordx2 v[2:3], v[2:3], off
	global_load_dwordx2 v[4:5], v[4:5], off
	s_clause 0x1
	global_load_dwordx2 v[27:28], v57, s[14:15] offset:448
	global_load_dwordx2 v[29:30], v57, s[14:15] offset:672
	s_clause 0x1
	global_load_dwordx2 v[10:11], v[10:11], off
	global_load_dwordx2 v[12:13], v[13:14], off
	v_add_co_u32 v31, s0, s14, v57
	v_mad_u64_u32 v[25:26], null, 0x1c0, s8, v[23:24]
	v_add_co_ci_u32_e64 v32, null, s15, 0, s0
	v_add_co_u32 v31, s0, 0x800, v31
	global_load_dwordx2 v[17:18], v[17:18], off
	v_add_co_ci_u32_e64 v32, s0, 0, v32, s0
	v_mov_b32_e32 v14, v26
	v_add_co_u32 v47, s0, v25, s10
	s_waitcnt vmcnt(8)
	v_mad_u64_u32 v[33:34], null, 0x1c0, s9, v[14:15]
	s_clause 0x5
	global_load_dwordx2 v[34:35], v57, s[14:15] offset:896
	global_load_dwordx2 v[36:37], v57, s[14:15] offset:1120
	;; [unrolled: 1-line block ×5, first 2 shown]
	global_load_dwordx2 v[44:45], v[31:32], off offset:192
	global_load_dwordx2 v[19:20], v[19:20], off
	global_load_dwordx2 v[21:22], v[21:22], off
	;; [unrolled: 1-line block ×3, first 2 shown]
	v_mov_b32_e32 v26, v33
	v_add_nc_u32_e32 v33, 0x800, v57
	v_add_co_ci_u32_e64 v48, s0, s7, v26, s0
	v_add_co_u32 v49, s0, v47, s10
	global_load_dwordx2 v[25:26], v[25:26], off
	v_add_co_ci_u32_e64 v50, s0, s7, v48, s0
	v_add_co_u32 v51, s0, v49, s10
	global_load_dwordx2 v[47:48], v[47:48], off
	v_add_co_ci_u32_e64 v52, s0, s7, v50, s0
	global_load_dwordx2 v[49:50], v[49:50], off
	s_clause 0x1
	global_load_dwordx2 v[53:54], v[31:32], off offset:416
	global_load_dwordx2 v[31:32], v[31:32], off offset:640
	global_load_dwordx2 v[51:52], v[51:52], off
	s_waitcnt vmcnt(21)
	v_mul_f32_e32 v14, v2, v7
	v_mul_f32_e32 v55, v3, v7
	;; [unrolled: 1-line block ×3, first 2 shown]
	s_waitcnt vmcnt(20)
	v_mul_f32_e32 v60, v4, v9
	v_mul_f32_e32 v16, v0, v16
	v_fma_f32 v56, v3, v6, -v14
	v_fmac_f32_e32 v55, v2, v6
	v_mul_f32_e32 v2, v5, v9
	v_fmac_f32_e32 v7, v0, v15
	v_fma_f32 v3, v5, v8, -v60
	s_waitcnt vmcnt(17)
	v_mul_f32_e32 v5, v11, v28
	v_mul_f32_e32 v0, v10, v28
	s_waitcnt vmcnt(16)
	v_mul_f32_e32 v9, v13, v30
	v_mul_f32_e32 v14, v12, v30
	v_fmac_f32_e32 v2, v4, v8
	v_fmac_f32_e32 v5, v10, v27
	v_fma_f32 v6, v11, v27, -v0
	v_fmac_f32_e32 v9, v12, v29
	v_fma_f32 v10, v13, v29, -v14
	ds_write2_b64 v57, v[55:56], v[2:3] offset1:28
	v_fma_f32 v8, v1, v15, -v16
	ds_write2_b64 v57, v[5:6], v[9:10] offset0:56 offset1:84
	s_waitcnt vmcnt(14)
	v_mul_f32_e32 v0, v18, v35
	v_mul_f32_e32 v1, v17, v35
	v_fmac_f32_e32 v0, v17, v34
	s_waitcnt vmcnt(8)
	v_mul_f32_e32 v2, v20, v37
	v_mul_f32_e32 v3, v19, v37
	s_waitcnt vmcnt(6)
	v_mul_f32_e32 v6, v23, v41
	v_mul_f32_e32 v4, v22, v39
	;; [unrolled: 1-line block ×4, first 2 shown]
	v_fma_f32 v1, v18, v34, -v1
	v_fma_f32 v10, v24, v40, -v6
	v_fmac_f32_e32 v2, v19, v36
	v_fma_f32 v3, v20, v36, -v3
	v_fmac_f32_e32 v4, v21, v38
	v_fma_f32 v5, v22, v38, -v5
	v_fmac_f32_e32 v9, v23, v40
	s_waitcnt vmcnt(5)
	v_mul_f32_e32 v11, v26, v43
	v_mul_f32_e32 v12, v25, v43
	s_waitcnt vmcnt(4)
	v_mul_f32_e32 v13, v48, v45
	v_mul_f32_e32 v6, v47, v45
	;; [unrolled: 3-line block ×4, first 2 shown]
	v_fmac_f32_e32 v11, v25, v42
	v_fma_f32 v12, v26, v42, -v12
	v_fmac_f32_e32 v13, v47, v44
	v_fma_f32 v14, v48, v44, -v6
	;; [unrolled: 2-line block ×4, first 2 shown]
	ds_write2_b64 v57, v[0:1], v[2:3] offset0:112 offset1:140
	ds_write2_b64 v57, v[4:5], v[9:10] offset0:168 offset1:196
	ds_write2_b64 v57, v[7:8], v[11:12] offset0:224 offset1:252
	ds_write2_b64 v33, v[13:14], v[15:16] offset0:24 offset1:52
	ds_write_b64 v57, v[17:18] offset:2688
.LBB0_3:
	s_or_b32 exec_lo, exec_lo, s1
	s_clause 0x1
	s_load_dwordx2 s[0:1], s[4:5], 0x20
	s_load_dwordx2 s[2:3], s[4:5], 0x8
	v_mov_b32_e32 v8, 0
	v_mov_b32_e32 v9, 0
	s_waitcnt lgkmcnt(0)
	s_barrier
	buffer_gl0_inv
                                        ; implicit-def: $vgpr22
                                        ; implicit-def: $vgpr16
                                        ; implicit-def: $vgpr12
                                        ; implicit-def: $vgpr34
                                        ; implicit-def: $vgpr26
                                        ; implicit-def: $vgpr30
	s_and_saveexec_b32 s4, vcc_lo
	s_cbranch_execz .LBB0_5
; %bb.4:
	v_add_nc_u32_e32 v0, 0x800, v57
	ds_read2_b64 v[8:11], v57 offset1:28
	ds_read2_b64 v[28:31], v57 offset0:56 offset1:84
	ds_read2_b64 v[24:27], v57 offset0:112 offset1:140
	;; [unrolled: 1-line block ×5, first 2 shown]
	ds_read_b64 v[34:35], v57 offset:2688
.LBB0_5:
	s_or_b32 exec_lo, exec_lo, s4
	s_waitcnt lgkmcnt(0)
	v_sub_f32_e32 v4, v11, v35
	v_sub_f32_e32 v5, v10, v34
	v_add_f32_e32 v51, v34, v10
	v_sub_f32_e32 v7, v29, v15
	v_add_f32_e32 v74, v35, v11
	v_mul_f32_e32 v36, 0xbeedf032, v4
	v_mul_f32_e32 v37, 0xbeedf032, v5
	v_add_f32_e32 v53, v14, v28
	v_sub_f32_e32 v32, v28, v14
	v_mul_f32_e32 v38, 0xbf52af12, v7
	v_fmamk_f32 v0, v51, 0x3f62ad3f, v36
	v_sub_f32_e32 v33, v31, v13
	v_fma_f32 v1, 0x3f62ad3f, v74, -v37
	v_add_f32_e32 v54, v15, v29
	v_mul_f32_e32 v39, 0xbf52af12, v32
	v_add_f32_e32 v0, v0, v8
	v_fmamk_f32 v2, v53, 0x3f116cb1, v38
	v_sub_f32_e32 v60, v30, v12
	v_add_f32_e32 v56, v12, v30
	v_mul_f32_e32 v40, 0xbf7e222b, v33
	v_sub_f32_e32 v114, v25, v19
	v_add_f32_e32 v1, v1, v9
	v_fma_f32 v3, 0x3f116cb1, v54, -v39
	v_add_f32_e32 v0, v2, v0
	v_add_f32_e32 v61, v13, v31
	v_mul_f32_e32 v41, 0xbf7e222b, v60
	v_fmamk_f32 v2, v56, 0x3df6dbef, v40
	v_sub_f32_e32 v115, v24, v18
	v_add_f32_e32 v66, v18, v24
	v_mul_f32_e32 v42, 0xbf6f5d39, v114
	v_sub_f32_e32 v117, v27, v17
	v_add_f32_e32 v1, v3, v1
	v_fma_f32 v3, 0x3df6dbef, v61, -v41
	v_add_f32_e32 v68, v19, v25
	v_mul_f32_e32 v43, 0xbf6f5d39, v115
	v_add_f32_e32 v0, v2, v0
	v_fmamk_f32 v2, v66, 0xbeb58ec6, v42
	v_sub_f32_e32 v122, v26, v16
	v_add_f32_e32 v76, v16, v26
	v_mul_f32_e32 v44, 0xbf29c268, v117
	v_sub_f32_e32 v123, v21, v23
	v_add_f32_e32 v1, v3, v1
	v_fma_f32 v3, 0xbeb58ec6, v68, -v43
	v_add_f32_e32 v75, v17, v27
	v_mul_f32_e32 v45, 0xbf29c268, v122
	v_add_f32_e32 v0, v2, v0
	v_fmamk_f32 v2, v76, 0xbf3f9e67, v44
	v_add_f32_e32 v77, v22, v20
	v_mul_f32_e32 v49, 0xbe750f2a, v123
	v_add_f32_e32 v1, v3, v1
	v_fma_f32 v3, 0xbf3f9e67, v75, -v45
	v_add_f32_e32 v0, v2, v0
	v_mul_f32_e32 v62, 0xbf52af12, v4
	v_fmamk_f32 v2, v77, 0xbf788fa5, v49
	v_mul_f32_e32 v70, 0xbf52af12, v5
	v_add_f32_e32 v1, v3, v1
	v_mul_f32_e32 v64, 0xbf6f5d39, v7
	v_mul_f32_e32 v72, 0xbf6f5d39, v32
	v_add_f32_e32 v47, v2, v0
	v_fmamk_f32 v0, v51, 0x3f116cb1, v62
	v_fma_f32 v3, 0x3f116cb1, v74, -v70
	v_sub_f32_e32 v127, v20, v22
	v_fmamk_f32 v6, v53, 0xbeb58ec6, v64
	v_mul_f32_e32 v65, 0xbe750f2a, v33
	v_add_f32_e32 v0, v0, v8
	v_add_f32_e32 v3, v3, v9
	v_fma_f32 v48, 0xbeb58ec6, v54, -v72
	v_mul_f32_e32 v69, 0xbe750f2a, v60
	v_add_f32_e32 v78, v23, v21
	v_mul_f32_e32 v50, 0xbe750f2a, v127
	v_add_f32_e32 v0, v6, v0
	v_fmamk_f32 v6, v56, 0xbf788fa5, v65
	v_mul_f32_e32 v67, 0x3f29c268, v114
	v_add_f32_e32 v3, v48, v3
	v_fma_f32 v48, 0xbf788fa5, v61, -v69
	v_mul_f32_e32 v71, 0x3f29c268, v115
	v_fma_f32 v2, 0xbf788fa5, v78, -v50
	v_add_f32_e32 v0, v6, v0
	v_fmamk_f32 v6, v66, 0xbf3f9e67, v67
	v_mul_f32_e32 v52, 0x3f7e222b, v117
	v_add_f32_e32 v3, v48, v3
	v_fma_f32 v55, 0xbf3f9e67, v68, -v71
	v_mul_f32_e32 v73, 0x3f7e222b, v122
	v_add_f32_e32 v0, v6, v0
	v_fmamk_f32 v6, v76, 0x3df6dbef, v52
	v_add_f32_e32 v48, v2, v1
	v_add_f32_e32 v1, v55, v3
	v_fma_f32 v2, 0x3df6dbef, v75, -v73
	v_mul_f32_e32 v80, 0xbf7e222b, v4
	v_mul_f32_e32 v55, 0x3eedf032, v123
	v_add_f32_e32 v0, v6, v0
	v_mul_f32_e32 v82, 0xbe750f2a, v7
	v_add_f32_e32 v1, v2, v1
	v_fmamk_f32 v2, v51, 0x3df6dbef, v80
	v_fmamk_f32 v3, v77, 0x3f62ad3f, v55
	v_mul_f32_e32 v87, 0xbf7e222b, v5
	v_fmamk_f32 v81, v53, 0xbf788fa5, v82
	v_mul_f32_e32 v84, 0x3f6f5d39, v33
	v_add_f32_e32 v79, v2, v8
	v_add_f32_e32 v2, v3, v0
	v_fma_f32 v0, 0x3df6dbef, v74, -v87
	v_mul_f32_e32 v88, 0xbe750f2a, v32
	v_mul_f32_e32 v89, 0x3f6f5d39, v60
	v_add_f32_e32 v3, v81, v79
	v_fmamk_f32 v81, v56, 0xbeb58ec6, v84
	v_mul_f32_e32 v79, 0x3eedf032, v114
	v_add_f32_e32 v0, v0, v9
	v_fma_f32 v83, 0xbf788fa5, v54, -v88
	v_mul_f32_e32 v63, 0x3eedf032, v127
	v_add_f32_e32 v3, v81, v3
	v_fmamk_f32 v85, v66, 0x3f62ad3f, v79
	v_mul_f32_e32 v81, 0xbf52af12, v117
	v_add_f32_e32 v0, v83, v0
	v_fma_f32 v86, 0xbeb58ec6, v61, -v89
	v_mul_f32_e32 v90, 0x3eedf032, v115
	v_fma_f32 v6, 0x3f62ad3f, v78, -v63
	v_add_f32_e32 v3, v85, v3
	v_fmamk_f32 v85, v76, 0x3f116cb1, v81
	v_mul_f32_e32 v83, 0xbf29c268, v123
	v_add_f32_e32 v0, v86, v0
	v_fma_f32 v91, 0x3f62ad3f, v68, -v90
	v_mul_f32_e32 v86, 0xbf52af12, v122
	v_add_f32_e32 v85, v85, v3
	v_fmamk_f32 v93, v77, 0xbf3f9e67, v83
	v_add_f32_e32 v3, v6, v1
	v_add_f32_e32 v1, v91, v0
	v_fma_f32 v6, 0x3f116cb1, v75, -v86
	v_mul_f32_e32 v92, 0xbf6f5d39, v4
	v_mul_f32_e32 v100, 0xbf6f5d39, v5
	v_add_f32_e32 v0, v93, v85
	v_mul_f32_e32 v95, 0x3f29c268, v7
	v_add_f32_e32 v1, v6, v1
	v_fmamk_f32 v6, v51, 0xbeb58ec6, v92
	v_fma_f32 v93, 0xbeb58ec6, v74, -v100
	v_mul_f32_e32 v101, 0x3f29c268, v32
	v_fmamk_f32 v94, v53, 0xbf3f9e67, v95
	v_mul_f32_e32 v91, 0x3eedf032, v33
	v_add_f32_e32 v6, v6, v8
	v_add_f32_e32 v97, v93, v9
	v_fma_f32 v98, 0xbf3f9e67, v54, -v101
	v_mul_f32_e32 v102, 0x3eedf032, v60
	v_mul_f32_e32 v85, 0xbf29c268, v127
	v_add_f32_e32 v6, v94, v6
	v_fmamk_f32 v94, v56, 0x3f62ad3f, v91
	v_mul_f32_e32 v93, 0xbf7e222b, v114
	v_add_f32_e32 v98, v98, v97
	v_fma_f32 v99, 0x3f62ad3f, v61, -v102
	v_mul_f32_e32 v97, 0xbf7e222b, v115
	v_fma_f32 v96, 0xbf3f9e67, v78, -v85
	v_add_f32_e32 v6, v94, v6
	v_fmamk_f32 v103, v66, 0x3df6dbef, v93
	v_mul_f32_e32 v94, 0x3e750f2a, v117
	v_add_f32_e32 v99, v99, v98
	v_fma_f32 v104, 0x3df6dbef, v68, -v97
	v_mul_f32_e32 v98, 0x3e750f2a, v122
	v_add_f32_e32 v6, v103, v6
	v_fmamk_f32 v103, v76, 0xbf788fa5, v94
	v_add_f32_e32 v1, v96, v1
	v_add_f32_e32 v105, v104, v99
	v_fma_f32 v106, 0xbf788fa5, v75, -v98
	v_mul_f32_e32 v104, 0xbf29c268, v4
	v_mul_f32_e32 v96, 0x3f52af12, v123
	v_add_f32_e32 v6, v103, v6
	v_mul_f32_e32 v111, 0xbf29c268, v5
	v_add_f32_e32 v128, v106, v105
	v_fmamk_f32 v103, v51, 0xbf3f9e67, v104
	v_mul_f32_e32 v105, 0x3f7e222b, v7
	v_fmamk_f32 v106, v77, 0x3f116cb1, v96
	v_mul_f32_e32 v108, 0xbf52af12, v33
	v_mul_f32_e32 v112, 0x3f7e222b, v32
	v_add_f32_e32 v103, v103, v8
	v_fmamk_f32 v107, v53, 0x3df6dbef, v105
	v_add_f32_e32 v6, v106, v6
	v_fma_f32 v106, 0xbf3f9e67, v74, -v111
	v_fmamk_f32 v109, v56, 0x3f116cb1, v108
	v_fma_f32 v116, 0x3df6dbef, v54, -v112
	v_add_f32_e32 v103, v107, v103
	v_mul_f32_e32 v107, 0x3e750f2a, v114
	v_add_f32_e32 v113, v106, v9
	v_mul_f32_e32 v110, 0xbf52af12, v60
	v_mul_f32_e32 v106, 0x3eedf032, v117
	v_add_f32_e32 v103, v109, v103
	v_fmamk_f32 v118, v66, 0xbf788fa5, v107
	v_add_f32_e32 v113, v116, v113
	v_fma_f32 v116, 0x3f116cb1, v61, -v110
	v_mul_f32_e32 v109, 0x3e750f2a, v115
	v_fmamk_f32 v119, v76, 0x3f62ad3f, v106
	v_add_f32_e32 v118, v118, v103
	v_mul_f32_e32 v124, 0xbe750f2a, v5
	v_add_f32_e32 v113, v116, v113
	v_mul_f32_e32 v116, 0xbe750f2a, v4
	v_fma_f32 v120, 0xbf788fa5, v68, -v109
	v_add_f32_e32 v4, v119, v118
	v_mul_f32_e32 v118, 0x3eedf032, v7
	v_fma_f32 v7, 0xbf788fa5, v74, -v124
	v_fmamk_f32 v119, v51, 0xbf788fa5, v116
	v_mul_f32_e32 v125, 0x3eedf032, v32
	v_add_f32_e32 v130, v120, v113
	v_fmamk_f32 v120, v53, 0x3f62ad3f, v118
	v_add_f32_e32 v7, v7, v9
	v_add_f32_e32 v32, v119, v8
	v_fma_f32 v121, 0x3f62ad3f, v54, -v125
	v_mul_f32_e32 v119, 0xbf29c268, v33
	v_mul_f32_e32 v126, 0xbf29c268, v60
	;; [unrolled: 1-line block ×3, first 2 shown]
	v_add_f32_e32 v32, v120, v32
	v_add_f32_e32 v7, v121, v7
	v_fmamk_f32 v60, v56, 0xbf3f9e67, v119
	v_fma_f32 v131, 0xbf3f9e67, v61, -v126
	v_mul_f32_e32 v120, 0x3f52af12, v114
	v_mul_f32_e32 v121, 0x3f52af12, v115
	v_fma_f32 v33, 0x3f62ad3f, v75, -v113
	v_add_f32_e32 v32, v60, v32
	v_add_f32_e32 v7, v131, v7
	v_fmamk_f32 v60, v66, 0x3f116cb1, v120
	v_fma_f32 v115, 0x3f116cb1, v68, -v121
	v_mul_f32_e32 v117, 0xbf6f5d39, v117
	v_mul_f32_e32 v122, 0xbf6f5d39, v122
	;; [unrolled: 1-line block ×4, first 2 shown]
	v_add_f32_e32 v33, v33, v130
	v_mul_f32_e32 v114, 0xbf6f5d39, v127
	v_add_f32_e32 v32, v60, v32
	v_add_f32_e32 v7, v115, v7
	v_fmamk_f32 v60, v76, 0xbeb58ec6, v117
	v_fma_f32 v130, 0xbeb58ec6, v75, -v122
	v_mul_f32_e32 v115, 0x3f7e222b, v123
	v_mul_f32_e32 v123, 0x3f7e222b, v127
	v_fma_f32 v129, 0x3f116cb1, v78, -v99
	v_fmamk_f32 v5, v77, 0xbeb58ec6, v103
	v_fma_f32 v127, 0xbeb58ec6, v78, -v114
	v_add_f32_e32 v32, v60, v32
	v_add_f32_e32 v60, v130, v7
	v_fmamk_f32 v130, v77, 0x3df6dbef, v115
	v_fma_f32 v131, 0x3df6dbef, v78, -v123
	v_add_f32_e32 v7, v129, v128
	v_add_f32_e32 v4, v5, v4
	;; [unrolled: 1-line block ×5, first 2 shown]
	v_mul_lo_u16 v60, v59, 13
	s_barrier
	buffer_gl0_inv
	s_and_saveexec_b32 s4, vcc_lo
	s_cbranch_execz .LBB0_7
; %bb.6:
	v_mul_f32_e32 v133, 0xbf788fa5, v74
	v_mul_f32_e32 v127, 0x3f62ad3f, v51
	;; [unrolled: 1-line block ×5, first 2 shown]
	v_add_f32_e32 v124, v124, v133
	v_mul_f32_e32 v133, 0x3f62ad3f, v54
	v_mul_f32_e32 v136, 0xbf3f9e67, v51
	v_mul_f32_e32 v51, 0xbf788fa5, v51
	v_mul_f32_e32 v128, 0x3f62ad3f, v74
	v_add_f32_e32 v124, v124, v9
	v_add_f32_e32 v125, v125, v133
	v_mul_f32_e32 v133, 0xbf3f9e67, v61
	v_sub_f32_e32 v51, v51, v116
	v_mul_f32_e32 v116, 0x3f116cb1, v68
	v_mul_f32_e32 v130, 0x3f116cb1, v74
	v_add_f32_e32 v124, v125, v124
	v_add_f32_e32 v125, v126, v133
	v_mul_f32_e32 v133, 0x3f62ad3f, v53
	v_add_f32_e32 v51, v51, v8
	v_add_f32_e32 v116, v121, v116
	v_mul_f32_e32 v121, 0xbf3f9e67, v56
	v_add_f32_e32 v124, v125, v124
	v_sub_f32_e32 v118, v133, v118
	v_mul_f32_e32 v132, 0x3df6dbef, v74
	v_mul_f32_e32 v135, 0xbeb58ec6, v74
	v_sub_f32_e32 v119, v121, v119
	v_mul_f32_e32 v74, 0xbf3f9e67, v74
	v_add_f32_e32 v51, v118, v51
	v_add_f32_e32 v116, v116, v124
	v_mul_f32_e32 v124, 0x3f116cb1, v66
	v_mul_f32_e32 v138, 0x3f116cb1, v54
	;; [unrolled: 1-line block ×3, first 2 shown]
	v_add_f32_e32 v51, v119, v51
	v_mul_f32_e32 v119, 0x3df6dbef, v78
	v_mul_f32_e32 v126, 0xbf788fa5, v54
	;; [unrolled: 1-line block ×5, first 2 shown]
	v_sub_f32_e32 v120, v124, v120
	v_add_f32_e32 v119, v123, v119
	v_mul_f32_e32 v123, 0xbeb58ec6, v76
	v_add_f32_e32 v74, v111, v74
	v_add_f32_e32 v118, v122, v118
	;; [unrolled: 1-line block ×4, first 2 shown]
	v_sub_f32_e32 v117, v123, v117
	v_add_f32_e32 v74, v74, v9
	v_mul_f32_e32 v137, 0x3f116cb1, v53
	v_mul_f32_e32 v139, 0xbeb58ec6, v53
	;; [unrolled: 1-line block ×6, first 2 shown]
	v_add_f32_e32 v116, v118, v116
	v_mul_f32_e32 v118, 0xbf788fa5, v61
	v_mul_f32_e32 v111, 0xbeb58ec6, v61
	;; [unrolled: 1-line block ×4, first 2 shown]
	v_add_f32_e32 v117, v117, v51
	v_add_f32_e32 v51, v54, v74
	v_sub_f32_e32 v54, v136, v104
	v_mul_f32_e32 v121, 0x3df6dbef, v56
	v_mul_f32_e32 v124, 0xbf788fa5, v56
	v_mul_f32_e32 v120, 0xbeb58ec6, v56
	v_mul_f32_e32 v123, 0x3f62ad3f, v56
	v_mul_f32_e32 v56, 0x3f116cb1, v56
	v_add_f32_e32 v61, v110, v61
	v_mul_f32_e32 v110, 0xbf788fa5, v68
	v_sub_f32_e32 v53, v53, v105
	v_add_f32_e32 v54, v54, v8
	v_mul_f32_e32 v142, 0xbeb58ec6, v66
	v_mul_f32_e32 v104, 0xbf3f9e67, v66
	v_add_f32_e32 v51, v61, v51
	v_mul_f32_e32 v61, 0x3f62ad3f, v66
	v_add_f32_e32 v109, v109, v110
	v_add_f32_e32 v53, v53, v54
	v_mul_f32_e32 v136, 0x3df6dbef, v66
	v_sub_f32_e32 v54, v56, v108
	v_mul_f32_e32 v56, 0x3f62ad3f, v75
	v_mul_f32_e32 v66, 0xbf788fa5, v66
	v_add_f32_e32 v51, v109, v51
	v_add_f32_e32 v11, v11, v9
	;; [unrolled: 1-line block ×4, first 2 shown]
	v_sub_f32_e32 v54, v66, v107
	v_add_f32_e32 v10, v10, v8
	v_add_f32_e32 v101, v101, v133
	v_sub_f32_e32 v92, v134, v92
	v_add_f32_e32 v56, v56, v51
	v_add_f32_e32 v51, v54, v53
	;; [unrolled: 1-line block ×3, first 2 shown]
	v_mul_f32_e32 v100, 0xbeb58ec6, v78
	v_add_f32_e32 v11, v29, v11
	v_add_f32_e32 v28, v28, v10
	v_mul_f32_e32 v74, 0xbeb58ec6, v68
	v_add_f32_e32 v54, v54, v9
	v_add_f32_e32 v100, v114, v100
	v_mul_f32_e32 v105, 0xbf3f9e67, v68
	v_mul_f32_e32 v110, 0x3f62ad3f, v68
	;; [unrolled: 1-line block ×5, first 2 shown]
	v_add_f32_e32 v101, v101, v54
	v_add_f32_e32 v102, v102, v112
	v_sub_f32_e32 v95, v125, v95
	v_add_f32_e32 v54, v100, v56
	v_add_f32_e32 v56, v92, v8
	;; [unrolled: 1-line block ×5, first 2 shown]
	v_mul_f32_e32 v113, 0xbf3f9e67, v75
	v_sub_f32_e32 v109, v109, v115
	v_mul_f32_e32 v115, 0x3df6dbef, v75
	v_sub_f32_e32 v53, v66, v106
	v_mul_f32_e32 v66, 0x3f116cb1, v75
	v_mul_f32_e32 v75, 0xbf788fa5, v75
	;; [unrolled: 1-line block ×7, first 2 shown]
	v_add_f32_e32 v92, v102, v101
	v_add_f32_e32 v68, v97, v68
	;; [unrolled: 1-line block ×3, first 2 shown]
	v_sub_f32_e32 v91, v123, v91
	v_add_f32_e32 v11, v25, v11
	v_add_f32_e32 v24, v24, v28
	;; [unrolled: 1-line block ×4, first 2 shown]
	v_mul_f32_e32 v108, 0xbf3f9e67, v76
	v_mul_f32_e32 v107, 0x3df6dbef, v76
	;; [unrolled: 1-line block ×5, first 2 shown]
	v_add_f32_e32 v53, v53, v51
	v_mul_f32_e32 v135, 0x3f62ad3f, v78
	v_mul_f32_e32 v134, 0xbf3f9e67, v78
	v_mul_f32_e32 v78, 0x3f116cb1, v78
	v_sub_f32_e32 v77, v77, v103
	v_add_f32_e32 v68, v68, v92
	v_add_f32_e32 v75, v98, v75
	v_add_f32_e32 v56, v91, v56
	v_sub_f32_e32 v91, v136, v93
	v_add_f32_e32 v11, v27, v11
	v_add_f32_e32 v24, v26, v24
	v_add_f32_e32 v87, v88, v87
	v_add_f32_e32 v88, v89, v111
	v_add_f32_e32 v68, v75, v68
	v_add_f32_e32 v75, v99, v78
	v_add_f32_e32 v78, v91, v56
	v_sub_f32_e32 v76, v76, v94
	v_add_f32_e32 v53, v77, v53
	v_sub_f32_e32 v77, v131, v80
	v_add_f32_e32 v70, v70, v130
	;; [unrolled: 2-line block ×4, first 2 shown]
	v_add_f32_e32 v20, v20, v24
	v_add_f32_e32 v87, v88, v87
	;; [unrolled: 1-line block ×11, first 2 shown]
	v_sub_f32_e32 v25, v137, v38
	v_add_f32_e32 v11, v23, v11
	v_add_f32_e32 v20, v22, v20
	v_add_f32_e32 v75, v88, v87
	v_add_f32_e32 v66, v86, v66
	v_sub_f32_e32 v77, v141, v82
	v_add_f32_e32 v72, v72, v140
	v_sub_f32_e32 v64, v139, v64
	v_add_f32_e32 v9, v28, v9
	v_add_f32_e32 v21, v41, v122
	;; [unrolled: 1-line block ×3, first 2 shown]
	v_sub_f32_e32 v24, v121, v40
	v_add_f32_e32 v11, v17, v11
	v_add_f32_e32 v16, v16, v20
	;; [unrolled: 1-line block ×5, first 2 shown]
	v_sub_f32_e32 v77, v120, v84
	v_add_f32_e32 v70, v72, v70
	v_add_f32_e32 v69, v69, v118
	v_add_f32_e32 v62, v64, v62
	v_sub_f32_e32 v64, v124, v65
	v_add_f32_e32 v9, v21, v9
	v_add_f32_e32 v21, v43, v74
	v_add_f32_e32 v8, v24, v8
	;; [unrolled: 4-line block ×3, first 2 shown]
	v_add_f32_e32 v75, v77, v76
	v_sub_f32_e32 v61, v61, v79
	v_add_f32_e32 v69, v69, v70
	v_add_f32_e32 v70, v71, v105
	v_add_f32_e32 v62, v64, v62
	v_sub_f32_e32 v64, v104, v67
	v_add_f32_e32 v9, v21, v9
	v_add_f32_e32 v20, v45, v113
	;; [unrolled: 4-line block ×6, first 2 shown]
	v_mov_b32_e32 v18, 3
	v_add_f32_e32 v61, v72, v61
	v_sub_f32_e32 v65, v112, v83
	v_add_f32_e32 v67, v70, v69
	v_add_f32_e32 v63, v63, v135
	;; [unrolled: 1-line block ×3, first 2 shown]
	v_sub_f32_e32 v31, v133, v55
	v_sub_f32_e32 v78, v125, v96
	v_add_f32_e32 v12, v13, v9
	v_add_f32_e32 v11, v16, v8
	;; [unrolled: 1-line block ×4, first 2 shown]
	v_lshlrev_b32_sdwa v8, v18, v60 dst_sel:DWORD dst_unused:UNUSED_PAD src0_sel:DWORD src1_sel:WORD_0
	v_add_f32_e32 v65, v65, v61
	v_add_f32_e32 v10, v63, v67
	;; [unrolled: 1-line block ×6, first 2 shown]
	ds_write2_b64 v8, v[13:14], v[11:12] offset1:1
	ds_write2_b64 v8, v[9:10], v[65:66] offset0:2 offset1:3
	ds_write2_b64 v8, v[55:56], v[53:54] offset0:4 offset1:5
	ds_write2_b64 v8, v[50:51], v[32:33] offset0:6 offset1:7
	ds_write2_b64 v8, v[4:5], v[6:7] offset0:8 offset1:9
	ds_write2_b64 v8, v[0:1], v[2:3] offset0:10 offset1:11
	ds_write_b64 v8, v[47:48] offset:96
.LBB0_7:
	s_or_b32 exec_lo, exec_lo, s4
	v_and_b32_e32 v8, 0xff, v59
	s_load_dwordx4 s[4:7], s[0:1], 0x0
	s_waitcnt lgkmcnt(0)
	s_barrier
	buffer_gl0_inv
	v_mul_lo_u16 v8, 0x4f, v8
	v_add_nc_u32_e32 v53, 0x400, v57
	v_mov_b32_e32 v38, 0x5b
	v_cmp_gt_u16_e64 s0, 39, v59
	v_lshrrev_b16 v36, 10, v8
	v_mul_lo_u16 v8, v36, 13
	v_mul_u32_u24_sdwa v36, v36, v38 dst_sel:DWORD dst_unused:UNUSED_PAD src0_sel:WORD_0 src1_sel:DWORD
	v_sub_nc_u16 v8, v59, v8
	v_and_b32_e32 v37, 0xff, v8
	v_mul_u32_u24_e32 v8, 6, v37
	v_add_lshl_u32 v61, v36, v37, 3
	v_lshlrev_b32_e32 v8, 3, v8
	s_clause 0x2
	global_load_dwordx4 v[16:19], v8, s[2:3]
	global_load_dwordx4 v[12:15], v8, s[2:3] offset:16
	global_load_dwordx4 v[8:11], v8, s[2:3] offset:32
	ds_read2_b64 v[20:23], v57 offset1:52
	ds_read2_b64 v[24:27], v57 offset0:104 offset1:156
	ds_read2_b64 v[28:31], v53 offset0:80 offset1:132
	ds_read_b64 v[34:35], v57 offset:2496
	s_waitcnt vmcnt(0) lgkmcnt(0)
	s_barrier
	buffer_gl0_inv
	v_mul_f32_e32 v36, v23, v17
	v_mul_f32_e32 v37, v22, v17
	v_mul_f32_e32 v38, v25, v19
	v_mul_f32_e32 v39, v24, v19
	v_mul_f32_e32 v40, v27, v13
	v_mul_f32_e32 v41, v26, v13
	v_mul_f32_e32 v44, v31, v9
	v_mul_f32_e32 v45, v30, v9
	v_mul_f32_e32 v49, v35, v11
	v_mul_f32_e32 v50, v34, v11
	v_mul_f32_e32 v42, v29, v15
	v_mul_f32_e32 v43, v28, v15
	v_fma_f32 v22, v22, v16, -v36
	v_fmac_f32_e32 v37, v23, v16
	v_fma_f32 v23, v24, v18, -v38
	v_fmac_f32_e32 v39, v25, v18
	;; [unrolled: 2-line block ×6, first 2 shown]
	v_add_f32_e32 v28, v22, v26
	v_add_f32_e32 v29, v37, v50
	;; [unrolled: 1-line block ×4, first 2 shown]
	v_sub_f32_e32 v22, v22, v26
	v_sub_f32_e32 v26, v37, v50
	;; [unrolled: 1-line block ×4, first 2 shown]
	v_add_f32_e32 v34, v24, v25
	v_add_f32_e32 v35, v41, v43
	v_sub_f32_e32 v24, v25, v24
	v_sub_f32_e32 v25, v43, v41
	v_add_f32_e32 v36, v30, v28
	v_add_f32_e32 v37, v31, v29
	v_sub_f32_e32 v38, v30, v28
	v_sub_f32_e32 v39, v31, v29
	;; [unrolled: 1-line block ×6, first 2 shown]
	v_add_f32_e32 v40, v24, v23
	v_add_f32_e32 v41, v25, v27
	v_sub_f32_e32 v42, v24, v23
	v_sub_f32_e32 v43, v25, v27
	;; [unrolled: 1-line block ×3, first 2 shown]
	v_add_f32_e32 v34, v34, v36
	v_add_f32_e32 v35, v35, v37
	v_sub_f32_e32 v27, v27, v26
	v_sub_f32_e32 v24, v22, v24
	;; [unrolled: 1-line block ×3, first 2 shown]
	v_add_f32_e32 v22, v40, v22
	v_add_f32_e32 v26, v41, v26
	v_mul_f32_e32 v28, 0x3f4a47b2, v28
	v_mul_f32_e32 v29, 0x3f4a47b2, v29
	;; [unrolled: 1-line block ×7, first 2 shown]
	v_add_f32_e32 v20, v20, v34
	v_add_f32_e32 v21, v21, v35
	v_mul_f32_e32 v43, 0x3f5ff5aa, v27
	v_fmamk_f32 v30, v30, 0x3d64c772, v28
	v_fmamk_f32 v31, v31, 0x3d64c772, v29
	v_fma_f32 v36, 0x3f3bfb3b, v38, -v36
	v_fma_f32 v37, 0x3f3bfb3b, v39, -v37
	;; [unrolled: 1-line block ×4, first 2 shown]
	v_fmamk_f32 v44, v24, 0x3eae86e6, v40
	v_fmamk_f32 v45, v25, 0x3eae86e6, v41
	v_fma_f32 v39, 0x3f5ff5aa, v23, -v40
	v_fma_f32 v38, 0x3f5ff5aa, v27, -v41
	;; [unrolled: 1-line block ×3, first 2 shown]
	v_fmamk_f32 v23, v34, 0xbf955555, v20
	v_fmamk_f32 v24, v35, 0xbf955555, v21
	v_fma_f32 v40, 0xbeae86e6, v25, -v43
	v_fmac_f32_e32 v44, 0x3ee1c552, v22
	v_fmac_f32_e32 v45, 0x3ee1c552, v26
	v_add_f32_e32 v30, v30, v23
	v_add_f32_e32 v31, v31, v24
	v_fmac_f32_e32 v39, 0x3ee1c552, v22
	v_fmac_f32_e32 v38, 0x3ee1c552, v26
	v_fmac_f32_e32 v41, 0x3ee1c552, v22
	v_fmac_f32_e32 v40, 0x3ee1c552, v26
	v_add_f32_e32 v34, v36, v23
	v_add_f32_e32 v28, v28, v23
	;; [unrolled: 1-line block ×5, first 2 shown]
	v_sub_f32_e32 v23, v31, v44
	v_add_f32_e32 v24, v40, v28
	v_sub_f32_e32 v25, v29, v41
	v_sub_f32_e32 v26, v34, v38
	v_add_f32_e32 v27, v39, v35
	v_add_f32_e32 v38, v38, v34
	v_sub_f32_e32 v39, v35, v39
	v_sub_f32_e32 v40, v28, v40
	v_add_f32_e32 v41, v41, v29
	v_sub_f32_e32 v30, v30, v45
	v_add_f32_e32 v31, v44, v31
	ds_write2_b64 v61, v[20:21], v[22:23] offset1:13
	ds_write2_b64 v61, v[24:25], v[26:27] offset0:26 offset1:39
	ds_write2_b64 v61, v[38:39], v[40:41] offset0:52 offset1:65
	ds_write_b64 v61, v[30:31] offset:624
	s_waitcnt lgkmcnt(0)
	s_barrier
	buffer_gl0_inv
	ds_read2_b64 v[34:37], v57 offset1:91
	ds_read2_b64 v[42:45], v53 offset0:54 offset1:145
	s_and_saveexec_b32 s1, s0
	s_cbranch_execz .LBB0_9
; %bb.8:
	ds_read2_b64 v[38:41], v57 offset0:52 offset1:143
	ds_read2_b64 v[30:33], v53 offset0:106 offset1:197
.LBB0_9:
	s_or_b32 exec_lo, exec_lo, s1
	v_add_nc_u32_e32 v22, 52, v59
	v_subrev_nc_u32_e32 v23, 39, v59
	v_mad_u64_u32 v[20:21], null, v59, 24, s[2:3]
	s_clause 0x1
	global_load_dwordx4 v[24:27], v[20:21], off offset:624
	global_load_dwordx2 v[51:52], v[20:21], off offset:640
	v_cndmask_b32_e64 v22, v23, v22, s0
	v_mul_i32_i24_e32 v20, 24, v22
	v_mul_hi_i32_i24_e32 v21, 24, v22
	v_add_co_u32 v28, s1, s2, v20
	v_add_co_ci_u32_e64 v29, s1, s3, v21, s1
	s_clause 0x1
	global_load_dwordx4 v[20:23], v[28:29], off offset:624
	global_load_dwordx2 v[49:50], v[28:29], off offset:640
	s_waitcnt vmcnt(3) lgkmcnt(1)
	v_mul_f32_e32 v28, v37, v25
	v_mul_f32_e32 v29, v36, v25
	s_waitcnt lgkmcnt(0)
	v_mul_f32_e32 v54, v43, v27
	v_mul_f32_e32 v55, v42, v27
	s_waitcnt vmcnt(2)
	v_mul_f32_e32 v62, v44, v52
	v_mul_f32_e32 v56, v45, v52
	v_fma_f32 v28, v36, v24, -v28
	v_fmac_f32_e32 v29, v37, v24
	v_fma_f32 v36, v42, v26, -v54
	v_fmac_f32_e32 v55, v43, v26
	v_fmac_f32_e32 v62, v45, v51
	v_fma_f32 v37, v44, v51, -v56
	v_sub_f32_e32 v42, v34, v36
	v_sub_f32_e32 v43, v35, v55
	;; [unrolled: 1-line block ×4, first 2 shown]
	s_waitcnt vmcnt(1)
	v_mul_f32_e32 v44, v41, v21
	v_mul_f32_e32 v45, v40, v21
	;; [unrolled: 1-line block ×4, first 2 shown]
	s_waitcnt vmcnt(0)
	v_mul_f32_e32 v56, v33, v50
	v_mul_f32_e32 v62, v32, v50
	v_fma_f32 v64, v35, 2.0, -v43
	v_fma_f32 v29, v29, 2.0, -v36
	v_fma_f32 v40, v40, v20, -v44
	v_fmac_f32_e32 v45, v41, v20
	v_fma_f32 v30, v30, v22, -v54
	v_fmac_f32_e32 v55, v31, v22
	;; [unrolled: 2-line block ×3, first 2 shown]
	v_sub_f32_e32 v36, v42, v36
	v_sub_f32_e32 v35, v64, v29
	;; [unrolled: 1-line block ×6, first 2 shown]
	v_fma_f32 v63, v34, 2.0, -v42
	v_fma_f32 v28, v28, 2.0, -v37
	;; [unrolled: 1-line block ×7, first 2 shown]
	v_add_f32_e32 v37, v43, v37
	v_sub_f32_e32 v34, v63, v28
	v_sub_f32_e32 v40, v32, v41
	;; [unrolled: 1-line block ×4, first 2 shown]
	v_add_f32_e32 v41, v33, v29
	v_fma_f32 v31, v43, 2.0, -v37
	v_fma_f32 v28, v63, 2.0, -v34
	;; [unrolled: 1-line block ×7, first 2 shown]
	ds_write2_b64 v57, v[28:29], v[30:31] offset1:91
	ds_write2_b64 v53, v[34:35], v[36:37] offset0:54 offset1:145
	s_and_saveexec_b32 s1, s0
	s_cbranch_execz .LBB0_11
; %bb.10:
	v_add_nc_u32_e32 v32, 0x400, v57
	ds_write2_b64 v57, v[42:43], v[44:45] offset0:52 offset1:143
	ds_write2_b64 v32, v[38:39], v[40:41] offset0:106 offset1:197
.LBB0_11:
	s_or_b32 exec_lo, exec_lo, s1
	s_waitcnt lgkmcnt(0)
	s_barrier
	buffer_gl0_inv
	s_and_saveexec_b32 s2, vcc_lo
	s_cbranch_execz .LBB0_13
; %bb.12:
	v_add_co_u32 v55, s1, s14, v57
	v_add_co_ci_u32_e64 v56, null, s15, 0, s1
	v_add_nc_u32_e32 v106, 0x400, v57
	v_add_co_u32 v32, s1, 0x800, v55
	v_add_co_ci_u32_e64 v33, s1, 0, v56, s1
	v_add_co_u32 v53, s1, 0xb60, v55
	v_add_co_ci_u32_e64 v54, s1, 0, v56, s1
	global_load_dwordx2 v[32:33], v[32:33], off offset:864
	v_add_co_u32 v55, s1, 0x1000, v55
	s_clause 0x4
	global_load_dwordx2 v[82:83], v[53:54], off offset:224
	global_load_dwordx2 v[84:85], v[53:54], off offset:448
	;; [unrolled: 1-line block ×5, first 2 shown]
	v_add_co_ci_u32_e64 v56, s1, 0, v56, s1
	s_clause 0x6
	global_load_dwordx2 v[92:93], v[53:54], off offset:1344
	global_load_dwordx2 v[94:95], v[53:54], off offset:1568
	;; [unrolled: 1-line block ×7, first 2 shown]
	ds_read_b64 v[53:54], v57
	v_add_nc_u32_e32 v107, 0x800, v57
	s_waitcnt vmcnt(12) lgkmcnt(0)
	v_mul_f32_e32 v55, v54, v33
	v_mul_f32_e32 v56, v53, v33
	v_fma_f32 v55, v53, v32, -v55
	v_fmac_f32_e32 v56, v54, v32
	ds_write_b64 v57, v[55:56]
	ds_read2_b64 v[53:56], v57 offset0:28 offset1:56
	ds_read2_b64 v[62:65], v57 offset0:84 offset1:112
	;; [unrolled: 1-line block ×6, first 2 shown]
	s_waitcnt vmcnt(11) lgkmcnt(5)
	v_mul_f32_e32 v32, v54, v83
	v_mul_f32_e32 v33, v53, v83
	s_waitcnt vmcnt(10)
	v_mul_f32_e32 v108, v56, v85
	v_mul_f32_e32 v83, v55, v85
	s_waitcnt vmcnt(9) lgkmcnt(4)
	v_mul_f32_e32 v109, v63, v87
	v_mul_f32_e32 v85, v62, v87
	s_waitcnt vmcnt(8)
	v_mul_f32_e32 v110, v65, v89
	v_mul_f32_e32 v87, v64, v89
	;; [unrolled: 6-line block ×4, first 2 shown]
	s_waitcnt vmcnt(1) lgkmcnt(1)
	v_mul_f32_e32 v115, v75, v103
	v_mul_f32_e32 v97, v74, v103
	;; [unrolled: 1-line block ×4, first 2 shown]
	s_waitcnt lgkmcnt(0)
	v_mul_f32_e32 v117, v79, v101
	v_mul_f32_e32 v99, v78, v101
	s_waitcnt vmcnt(0)
	v_mul_f32_e32 v118, v81, v105
	v_mul_f32_e32 v101, v80, v105
	v_fma_f32 v32, v53, v82, -v32
	v_fmac_f32_e32 v33, v54, v82
	v_fma_f32 v82, v55, v84, -v108
	v_fmac_f32_e32 v83, v56, v84
	;; [unrolled: 2-line block ×12, first 2 shown]
	ds_write2_b64 v57, v[32:33], v[82:83] offset0:28 offset1:56
	ds_write2_b64 v57, v[84:85], v[86:87] offset0:84 offset1:112
	;; [unrolled: 1-line block ×6, first 2 shown]
.LBB0_13:
	s_or_b32 exec_lo, exec_lo, s2
	s_waitcnt lgkmcnt(0)
	s_barrier
	buffer_gl0_inv
	s_and_saveexec_b32 s1, vcc_lo
	s_cbranch_execz .LBB0_15
; %bb.14:
	v_add_nc_u32_e32 v0, 0x800, v57
	ds_read2_b64 v[28:31], v57 offset1:28
	ds_read2_b64 v[34:37], v57 offset0:56 offset1:84
	ds_read2_b64 v[42:45], v57 offset0:112 offset1:140
	ds_read2_b64 v[38:41], v57 offset0:168 offset1:196
	ds_read2_b64 v[4:7], v57 offset0:224 offset1:252
	ds_read2_b64 v[0:3], v0 offset0:24 offset1:52
	ds_read_b64 v[47:48], v57 offset:2688
.LBB0_15:
	s_or_b32 exec_lo, exec_lo, s1
	s_waitcnt lgkmcnt(0)
	v_sub_f32_e32 v74, v31, v48
	v_add_f32_e32 v82, v48, v31
	v_add_f32_e32 v62, v47, v30
	v_sub_f32_e32 v75, v35, v3
	v_sub_f32_e32 v65, v30, v47
	v_mul_f32_e32 v53, 0xbe750f2a, v74
	v_mul_f32_e32 v56, 0xbf788fa5, v82
	v_add_f32_e32 v63, v2, v34
	v_add_f32_e32 v83, v3, v35
	v_mul_f32_e32 v54, 0x3eedf032, v75
	v_fma_f32 v32, 0xbf788fa5, v62, -v53
	v_fmamk_f32 v33, v65, 0xbe750f2a, v56
	v_sub_f32_e32 v64, v34, v2
	v_mul_f32_e32 v88, 0x3f62ad3f, v83
	v_sub_f32_e32 v76, v37, v1
	v_add_f32_e32 v32, v28, v32
	v_fma_f32 v67, 0x3f62ad3f, v63, -v54
	v_add_f32_e32 v84, v1, v37
	v_add_f32_e32 v33, v29, v33
	v_fmamk_f32 v68, v64, 0x3eedf032, v88
	v_add_f32_e32 v66, v0, v36
	v_mul_f32_e32 v55, 0xbf29c268, v76
	v_add_f32_e32 v32, v67, v32
	v_sub_f32_e32 v67, v36, v0
	v_mul_f32_e32 v90, 0xbf3f9e67, v84
	v_sub_f32_e32 v78, v43, v7
	v_add_f32_e32 v33, v68, v33
	v_fma_f32 v70, 0xbf3f9e67, v66, -v55
	v_add_f32_e32 v85, v7, v43
	v_fmamk_f32 v71, v67, 0xbf29c268, v90
	v_add_f32_e32 v68, v6, v42
	v_mul_f32_e32 v86, 0x3f52af12, v78
	v_sub_f32_e32 v69, v42, v6
	v_mul_f32_e32 v91, 0x3f116cb1, v85
	v_add_f32_e32 v32, v70, v32
	v_add_f32_e32 v33, v71, v33
	v_sub_f32_e32 v77, v45, v5
	v_fma_f32 v71, 0x3f116cb1, v68, -v86
	v_add_f32_e32 v81, v5, v45
	v_fmamk_f32 v72, v69, 0x3f52af12, v91
	v_add_f32_e32 v70, v4, v44
	v_mul_f32_e32 v89, 0xbf6f5d39, v77
	v_add_f32_e32 v32, v71, v32
	v_sub_f32_e32 v71, v44, v4
	v_mul_f32_e32 v92, 0xbeb58ec6, v81
	v_sub_f32_e32 v79, v39, v41
	v_add_f32_e32 v80, v41, v39
	v_add_f32_e32 v33, v72, v33
	v_fma_f32 v94, 0xbeb58ec6, v70, -v89
	v_fmamk_f32 v95, v71, 0xbf6f5d39, v92
	v_add_f32_e32 v72, v40, v38
	v_sub_f32_e32 v73, v38, v40
	v_mul_f32_e32 v87, 0x3f7e222b, v79
	v_mul_f32_e32 v93, 0x3df6dbef, v80
	v_add_f32_e32 v32, v94, v32
	v_add_f32_e32 v33, v95, v33
	v_fma_f32 v94, 0x3df6dbef, v72, -v87
	v_fmamk_f32 v95, v73, 0x3f7e222b, v93
	s_barrier
	buffer_gl0_inv
	v_add_f32_e32 v32, v94, v32
	v_add_f32_e32 v33, v95, v33
	s_and_saveexec_b32 s1, vcc_lo
	s_cbranch_execz .LBB0_17
; %bb.16:
	v_mul_f32_e32 v94, 0xbe750f2a, v65
	v_mul_f32_e32 v95, 0xbf788fa5, v62
	;; [unrolled: 1-line block ×5, first 2 shown]
	v_sub_f32_e32 v56, v56, v94
	v_mul_f32_e32 v94, 0xbf29c268, v67
	v_sub_f32_e32 v88, v88, v97
	v_add_f32_e32 v53, v95, v53
	v_mul_f32_e32 v100, 0x3f52af12, v69
	v_add_f32_e32 v56, v29, v56
	v_sub_f32_e32 v90, v90, v94
	v_add_f32_e32 v54, v96, v54
	v_add_f32_e32 v53, v28, v53
	v_mul_f32_e32 v99, 0x3f116cb1, v68
	v_add_f32_e32 v56, v88, v56
	v_mul_f32_e32 v101, 0xbf6f5d39, v71
	v_sub_f32_e32 v91, v91, v100
	v_add_f32_e32 v55, v98, v55
	v_add_f32_e32 v53, v54, v53
	;; [unrolled: 1-line block ×3, first 2 shown]
	v_mul_f32_e32 v90, 0xbf3f9e67, v82
	v_mul_f32_e32 v97, 0xbeb58ec6, v70
	v_sub_f32_e32 v54, v92, v101
	v_add_f32_e32 v86, v99, v86
	v_add_f32_e32 v56, v91, v56
	v_mul_f32_e32 v91, 0x3f7e222b, v73
	v_add_f32_e32 v53, v55, v53
	v_fmamk_f32 v55, v65, 0x3f29c268, v90
	v_mul_f32_e32 v92, 0x3df6dbef, v83
	v_mul_f32_e32 v88, 0x3df6dbef, v72
	v_add_f32_e32 v54, v54, v56
	v_sub_f32_e32 v56, v93, v91
	v_add_f32_e32 v53, v86, v53
	v_add_f32_e32 v86, v97, v89
	;; [unrolled: 1-line block ×3, first 2 shown]
	v_fmamk_f32 v89, v64, 0xbf7e222b, v92
	v_mul_f32_e32 v91, 0x3f116cb1, v84
	v_mul_f32_e32 v93, 0xbf29c268, v74
	v_add_f32_e32 v54, v56, v54
	v_add_f32_e32 v53, v86, v53
	;; [unrolled: 1-line block ×3, first 2 shown]
	v_fmamk_f32 v56, v67, 0x3f52af12, v91
	v_mul_f32_e32 v94, 0xbf788fa5, v85
	v_add_f32_e32 v86, v88, v87
	v_fmamk_f32 v87, v62, 0xbf3f9e67, v93
	v_mul_f32_e32 v95, 0x3f7e222b, v75
	v_add_f32_e32 v55, v56, v55
	;; [unrolled: 3-line block ×4, first 2 shown]
	v_fmamk_f32 v56, v71, 0xbeedf032, v96
	v_add_f32_e32 v53, v86, v53
	v_add_f32_e32 v86, v88, v87
	v_fmamk_f32 v87, v66, 0x3f116cb1, v97
	v_mul_f32_e32 v98, 0x3e750f2a, v78
	v_mul_f32_e32 v99, 0xbeb58ec6, v80
	;; [unrolled: 1-line block ×3, first 2 shown]
	v_add_f32_e32 v55, v56, v55
	v_add_f32_e32 v56, v87, v86
	v_fmamk_f32 v86, v68, 0xbf788fa5, v98
	v_fmamk_f32 v87, v73, 0x3f6f5d39, v99
	v_fmamk_f32 v88, v65, 0x3f6f5d39, v100
	v_mul_f32_e32 v102, 0xbf3f9e67, v83
	v_mul_f32_e32 v101, 0x3eedf032, v77
	v_add_f32_e32 v86, v86, v56
	v_add_f32_e32 v56, v87, v55
	;; [unrolled: 1-line block ×3, first 2 shown]
	v_fmamk_f32 v87, v64, 0xbf29c268, v102
	v_mul_f32_e32 v103, 0x3f62ad3f, v84
	v_fmamk_f32 v89, v70, 0x3f62ad3f, v101
	v_mul_f32_e32 v105, 0xbf6f5d39, v74
	v_mul_f32_e32 v106, 0x3df6dbef, v85
	v_add_f32_e32 v55, v87, v55
	v_fmamk_f32 v87, v67, 0xbeedf032, v103
	v_add_f32_e32 v86, v89, v86
	v_mul_f32_e32 v104, 0xbf6f5d39, v79
	v_fmamk_f32 v89, v62, 0xbeb58ec6, v105
	v_mul_f32_e32 v107, 0x3f29c268, v75
	v_add_f32_e32 v55, v87, v55
	v_fmamk_f32 v87, v69, 0x3f7e222b, v106
	v_mul_f32_e32 v108, 0xbf788fa5, v81
	v_fmamk_f32 v88, v72, 0xbeb58ec6, v104
	v_add_f32_e32 v89, v28, v89
	v_fmamk_f32 v109, v63, 0xbf3f9e67, v107
	v_mul_f32_e32 v110, 0x3eedf032, v76
	v_add_f32_e32 v87, v87, v55
	v_fmamk_f32 v111, v71, 0xbe750f2a, v108
	v_add_f32_e32 v55, v88, v86
	v_add_f32_e32 v86, v109, v89
	v_fmamk_f32 v88, v66, 0x3f62ad3f, v110
	v_mul_f32_e32 v109, 0xbf7e222b, v78
	v_add_f32_e32 v87, v111, v87
	v_mul_f32_e32 v111, 0x3f116cb1, v80
	v_mul_f32_e32 v112, 0x3df6dbef, v82
	v_add_f32_e32 v86, v88, v86
	v_fmamk_f32 v88, v68, 0x3df6dbef, v109
	v_mul_f32_e32 v113, 0x3e750f2a, v77
	v_fmamk_f32 v89, v73, 0xbf52af12, v111
	v_fmamk_f32 v114, v65, 0x3f7e222b, v112
	v_mul_f32_e32 v115, 0xbf788fa5, v83
	v_add_f32_e32 v86, v88, v86
	v_fmamk_f32 v88, v70, 0xbf788fa5, v113
	v_add_f32_e32 v87, v89, v87
	v_add_f32_e32 v89, v29, v114
	v_fmamk_f32 v114, v64, 0x3e750f2a, v115
	v_mul_f32_e32 v116, 0xbeb58ec6, v84
	v_mul_f32_e32 v118, 0xbf7e222b, v74
	v_add_f32_e32 v86, v88, v86
	v_mul_f32_e32 v117, 0x3f52af12, v79
	v_add_f32_e32 v88, v114, v89
	v_fmamk_f32 v89, v67, 0xbf6f5d39, v116
	v_mul_f32_e32 v114, 0x3f62ad3f, v85
	v_fmamk_f32 v120, v62, 0x3df6dbef, v118
	v_mul_f32_e32 v121, 0xbe750f2a, v75
	v_fmamk_f32 v119, v72, 0x3f116cb1, v117
	v_add_f32_e32 v88, v89, v88
	v_fmamk_f32 v89, v69, 0xbeedf032, v114
	v_mul_f32_e32 v122, 0x3f116cb1, v81
	v_add_f32_e32 v120, v28, v120
	v_fmamk_f32 v123, v63, 0xbf788fa5, v121
	v_mul_f32_e32 v124, 0x3f6f5d39, v76
	v_add_f32_e32 v88, v89, v88
	v_fmamk_f32 v89, v71, 0x3f52af12, v122
	v_add_f32_e32 v86, v119, v86
	v_add_f32_e32 v119, v123, v120
	v_fmamk_f32 v120, v66, 0xbeb58ec6, v124
	v_mul_f32_e32 v123, 0x3eedf032, v78
	v_mul_f32_e32 v125, 0x3f116cb1, v82
	v_add_f32_e32 v88, v89, v88
	v_mul_f32_e32 v126, 0xbf3f9e67, v80
	v_add_f32_e32 v89, v120, v119
	v_fmamk_f32 v119, v68, 0x3f62ad3f, v123
	v_mul_f32_e32 v120, 0xbf52af12, v77
	v_fmamk_f32 v127, v65, 0x3f52af12, v125
	v_mul_f32_e32 v128, 0xbeb58ec6, v83
	v_fmamk_f32 v129, v73, 0x3f29c268, v126
	v_add_f32_e32 v119, v119, v89
	v_fmamk_f32 v130, v70, 0x3f116cb1, v120
	v_add_f32_e32 v127, v29, v127
	v_fmamk_f32 v131, v64, 0x3f6f5d39, v128
	v_mul_f32_e32 v132, 0xbf788fa5, v84
	v_add_f32_e32 v89, v129, v88
	v_add_f32_e32 v88, v130, v119
	v_mul_f32_e32 v130, 0xbf3f9e67, v85
	v_add_f32_e32 v127, v131, v127
	v_fmamk_f32 v129, v67, 0x3e750f2a, v132
	v_mul_f32_e32 v119, 0xbf52af12, v74
	v_mul_f32_e32 v135, 0x3df6dbef, v81
	v_add_f32_e32 v31, v31, v29
	v_mul_f32_e32 v134, 0xbf6f5d39, v75
	v_add_f32_e32 v127, v129, v127
	v_fmamk_f32 v129, v69, 0xbf29c268, v130
	v_fmamk_f32 v133, v62, 0x3f116cb1, v119
	v_add_f32_e32 v31, v35, v31
	v_add_f32_e32 v30, v30, v28
	v_mul_f32_e32 v131, 0xbf29c268, v79
	v_add_f32_e32 v127, v129, v127
	v_fmamk_f32 v129, v71, 0xbf7e222b, v135
	v_add_f32_e32 v133, v28, v133
	v_fmamk_f32 v136, v63, 0xbeb58ec6, v134
	v_mul_f32_e32 v137, 0xbe750f2a, v76
	v_add_f32_e32 v31, v37, v31
	v_add_f32_e32 v127, v129, v127
	v_mul_f32_e32 v129, 0x3f62ad3f, v82
	v_add_f32_e32 v30, v34, v30
	v_fmamk_f32 v138, v72, 0xbf3f9e67, v131
	v_add_f32_e32 v133, v136, v133
	v_fmamk_f32 v136, v66, 0xbf788fa5, v137
	v_mul_f32_e32 v139, 0x3f29c268, v78
	v_fmamk_f32 v140, v65, 0x3eedf032, v129
	v_mul_f32_e32 v141, 0x3f116cb1, v83
	v_add_f32_e32 v31, v43, v31
	v_add_f32_e32 v30, v36, v30
	;; [unrolled: 1-line block ×4, first 2 shown]
	v_fmamk_f32 v133, v68, 0xbf3f9e67, v139
	v_mul_f32_e32 v136, 0x3f7e222b, v77
	v_mul_f32_e32 v138, 0x3f62ad3f, v80
	v_add_f32_e32 v140, v29, v140
	v_fmamk_f32 v142, v64, 0x3f52af12, v141
	v_mul_f32_e32 v84, 0x3df6dbef, v84
	v_mul_f32_e32 v74, 0xbeedf032, v74
	v_add_f32_e32 v31, v45, v31
	v_add_f32_e32 v30, v42, v30
	;; [unrolled: 1-line block ×3, first 2 shown]
	v_fmamk_f32 v83, v70, 0x3df6dbef, v136
	v_fmamk_f32 v143, v73, 0xbeedf032, v138
	v_add_f32_e32 v140, v142, v140
	v_fmamk_f32 v142, v67, 0x3f7e222b, v84
	v_mul_f32_e32 v85, 0xbeb58ec6, v85
	v_fmamk_f32 v37, v62, 0x3f62ad3f, v74
	v_mul_f32_e32 v75, 0xbf52af12, v75
	v_add_f32_e32 v31, v39, v31
	v_add_f32_e32 v30, v44, v30
	v_add_f32_e32 v82, v83, v82
	v_add_f32_e32 v83, v143, v127
	v_add_f32_e32 v127, v142, v140
	v_fmamk_f32 v140, v69, 0x3f6f5d39, v85
	v_mul_f32_e32 v35, 0xbf3f9e67, v81
	v_add_f32_e32 v36, v28, v37
	v_fmamk_f32 v37, v63, 0x3f116cb1, v75
	v_mul_f32_e32 v42, 0xbf7e222b, v76
	v_add_f32_e32 v41, v41, v31
	v_add_f32_e32 v30, v38, v30
	;; [unrolled: 1-line block ×3, first 2 shown]
	v_fmamk_f32 v34, v71, 0x3f29c268, v35
	v_mul_f32_e32 v43, 0xbf788fa5, v80
	v_add_f32_e32 v36, v37, v36
	v_fmamk_f32 v37, v66, 0x3df6dbef, v42
	v_mul_f32_e32 v39, 0xbf6f5d39, v78
	v_add_f32_e32 v5, v5, v41
	v_add_f32_e32 v30, v40, v30
	v_fmac_f32_e32 v90, 0xbf29c268, v65
	v_add_f32_e32 v34, v34, v81
	v_fmamk_f32 v44, v73, 0x3e750f2a, v43
	v_add_f32_e32 v36, v37, v36
	v_fmamk_f32 v37, v68, 0xbeb58ec6, v39
	v_add_f32_e32 v5, v7, v5
	v_add_f32_e32 v4, v4, v30
	;; [unrolled: 1-line block ×3, first 2 shown]
	v_fmac_f32_e32 v92, 0x3f7e222b, v64
	v_add_f32_e32 v31, v44, v34
	v_add_f32_e32 v34, v37, v36
	v_mul_f32_e32 v36, 0xbf29c268, v77
	v_add_f32_e32 v1, v1, v5
	v_add_f32_e32 v4, v6, v4
	;; [unrolled: 1-line block ×3, first 2 shown]
	v_fmac_f32_e32 v91, 0xbf52af12, v67
	v_fmamk_f32 v30, v70, 0xbf3f9e67, v36
	v_mul_f32_e32 v37, 0xbe750f2a, v79
	v_add_f32_e32 v1, v3, v1
	v_add_f32_e32 v0, v0, v4
	;; [unrolled: 1-line block ×3, first 2 shown]
	v_fmac_f32_e32 v94, 0x3e750f2a, v69
	v_fma_f32 v4, 0xbf3f9e67, v62, -v93
	v_add_f32_e32 v6, v30, v34
	v_fmamk_f32 v7, v72, 0xbf788fa5, v37
	v_add_f32_e32 v0, v2, v0
	v_add_f32_e32 v2, v94, v3
	v_fmac_f32_e32 v96, 0x3eedf032, v71
	v_add_f32_e32 v3, v28, v4
	v_fma_f32 v4, 0x3df6dbef, v63, -v95
	v_fmac_f32_e32 v100, 0xbf6f5d39, v65
	v_add_f32_e32 v30, v7, v6
	v_add_f32_e32 v2, v96, v2
	v_fmac_f32_e32 v99, 0xbf6f5d39, v73
	v_add_f32_e32 v4, v4, v3
	v_fma_f32 v5, 0x3f116cb1, v66, -v97
	v_add_f32_e32 v6, v29, v100
	v_fmac_f32_e32 v102, 0x3f29c268, v64
	v_add_f32_e32 v3, v99, v2
	v_fma_f32 v2, 0xbeb58ec6, v62, -v105
	v_add_f32_e32 v4, v5, v4
	v_fma_f32 v5, 0xbf788fa5, v68, -v98
	v_add_f32_e32 v6, v102, v6
	v_fmac_f32_e32 v103, 0x3eedf032, v67
	v_add_f32_e32 v2, v28, v2
	v_fma_f32 v7, 0xbf3f9e67, v63, -v107
	;; [unrolled: 6-line block ×4, first 2 shown]
	v_add_f32_e32 v2, v5, v4
	v_fmac_f32_e32 v112, 0xbf7e222b, v65
	v_add_f32_e32 v4, v108, v6
	v_fmac_f32_e32 v111, 0x3f52af12, v73
	v_add_f32_e32 v6, v34, v7
	v_fma_f32 v7, 0xbf788fa5, v70, -v113
	v_add_f32_e32 v34, v29, v112
	v_fmac_f32_e32 v115, 0xbe750f2a, v64
	v_add_f32_e32 v5, v111, v4
	v_fma_f32 v4, 0x3df6dbef, v62, -v118
	v_add_f32_e32 v6, v7, v6
	v_fma_f32 v7, 0x3f116cb1, v72, -v117
	v_add_f32_e32 v34, v115, v34
	v_fmac_f32_e32 v116, 0x3f6f5d39, v67
	v_add_f32_e32 v38, v28, v4
	v_fma_f32 v40, 0xbf788fa5, v63, -v121
	v_fmac_f32_e32 v125, 0xbf52af12, v65
	v_add_f32_e32 v4, v7, v6
	v_add_f32_e32 v6, v116, v34
	v_fmac_f32_e32 v114, 0x3eedf032, v69
	v_add_f32_e32 v7, v40, v38
	v_fma_f32 v34, 0xbeb58ec6, v66, -v124
	v_add_f32_e32 v38, v29, v125
	v_fmac_f32_e32 v128, 0xbf6f5d39, v64
	v_add_f32_e32 v6, v114, v6
	v_fmac_f32_e32 v122, 0xbf52af12, v71
	v_add_f32_e32 v7, v34, v7
	v_fma_f32 v34, 0x3f62ad3f, v68, -v123
	v_add_f32_e32 v38, v128, v38
	v_fmac_f32_e32 v132, 0xbe750f2a, v67
	;; [unrolled: 6-line block ×3, first 2 shown]
	v_add_f32_e32 v7, v126, v6
	v_fma_f32 v6, 0x3f116cb1, v62, -v119
	v_add_f32_e32 v34, v40, v34
	v_fma_f32 v40, 0xbf3f9e67, v72, -v131
	v_add_f32_e32 v38, v130, v38
	v_fmac_f32_e32 v135, 0x3f7e222b, v71
	v_add_f32_e32 v41, v28, v6
	v_fma_f32 v44, 0xbeb58ec6, v63, -v134
	v_add_f32_e32 v6, v40, v34
	v_fmac_f32_e32 v129, 0xbeedf032, v65
	v_add_f32_e32 v34, v135, v38
	v_fma_f32 v38, 0x3f62ad3f, v62, -v74
	v_add_f32_e32 v40, v44, v41
	v_fma_f32 v41, 0xbf788fa5, v66, -v137
	v_add_f32_e32 v29, v29, v129
	v_fmac_f32_e32 v141, 0xbf52af12, v64
	v_add_f32_e32 v28, v28, v38
	v_fma_f32 v38, 0x3f116cb1, v63, -v75
	;; [unrolled: 6-line block ×4, first 2 shown]
	v_mul_f32_e32 v133, 0x3eedf032, v79
	v_add_f32_e32 v39, v41, v40
	v_add_f32_e32 v29, v85, v29
	v_fmac_f32_e32 v35, 0xbf29c268, v71
	v_add_f32_e32 v28, v38, v28
	v_fma_f32 v36, 0xbf3f9e67, v70, -v36
	v_mov_b32_e32 v40, 3
	v_fmamk_f32 v144, v72, 0x3f62ad3f, v133
	v_add_f32_e32 v1, v48, v1
	v_add_f32_e32 v0, v47, v0
	v_fmac_f32_e32 v138, 0x3eedf032, v73
	v_fma_f32 v38, 0x3f62ad3f, v72, -v133
	v_add_f32_e32 v35, v35, v29
	v_fmac_f32_e32 v43, 0xbe750f2a, v73
	v_add_f32_e32 v36, v36, v28
	v_fma_f32 v37, 0xbf788fa5, v72, -v37
	v_lshlrev_b32_sdwa v40, v40, v60 dst_sel:DWORD dst_unused:UNUSED_PAD src0_sel:DWORD src1_sel:WORD_0
	v_add_f32_e32 v82, v144, v82
	v_add_f32_e32 v29, v138, v34
	;; [unrolled: 1-line block ×5, first 2 shown]
	ds_write2_b64 v40, v[0:1], v[30:31] offset1:1
	ds_write2_b64 v40, v[82:83], v[88:89] offset0:2 offset1:3
	ds_write2_b64 v40, v[86:87], v[55:56] offset0:4 offset1:5
	;; [unrolled: 1-line block ×5, first 2 shown]
	ds_write_b64 v40, v[34:35] offset:96
.LBB0_17:
	s_or_b32 exec_lo, exec_lo, s1
	v_add_nc_u32_e32 v28, 0x400, v57
	s_waitcnt lgkmcnt(0)
	s_barrier
	buffer_gl0_inv
	ds_read2_b64 v[0:3], v57 offset1:52
	ds_read2_b64 v[4:7], v57 offset0:104 offset1:156
	ds_read_b64 v[29:30], v57 offset:2496
	ds_read2_b64 v[34:37], v28 offset0:80 offset1:132
	s_waitcnt lgkmcnt(0)
	s_barrier
	buffer_gl0_inv
	v_mul_f32_e32 v31, v17, v3
	v_mul_f32_e32 v38, v19, v5
	;; [unrolled: 1-line block ×8, first 2 shown]
	v_fmac_f32_e32 v38, v18, v4
	v_fma_f32 v4, v12, v7, -v13
	v_mul_f32_e32 v7, v9, v37
	v_mul_f32_e32 v9, v9, v36
	v_fmac_f32_e32 v31, v16, v2
	v_fma_f32 v2, v16, v3, -v17
	v_fma_f32 v3, v18, v5, -v19
	v_fmac_f32_e32 v39, v12, v6
	v_mul_f32_e32 v5, v15, v35
	v_mul_f32_e32 v6, v15, v34
	v_fmac_f32_e32 v40, v10, v29
	v_fma_f32 v10, v10, v30, -v11
	v_fmac_f32_e32 v7, v8, v36
	v_fma_f32 v8, v8, v37, -v9
	;; [unrolled: 2-line block ×3, first 2 shown]
	v_add_f32_e32 v9, v31, v40
	v_add_f32_e32 v11, v2, v10
	v_sub_f32_e32 v2, v2, v10
	v_add_f32_e32 v10, v38, v7
	v_add_f32_e32 v13, v3, v8
	v_sub_f32_e32 v7, v38, v7
	v_sub_f32_e32 v3, v3, v8
	v_add_f32_e32 v8, v39, v5
	v_add_f32_e32 v14, v4, v6
	v_sub_f32_e32 v5, v5, v39
	;; [unrolled: 4-line block ×3, first 2 shown]
	v_sub_f32_e32 v16, v10, v9
	v_sub_f32_e32 v17, v13, v11
	;; [unrolled: 1-line block ×8, first 2 shown]
	v_add_f32_e32 v6, v8, v6
	v_add_f32_e32 v8, v14, v15
	;; [unrolled: 1-line block ×4, first 2 shown]
	v_sub_f32_e32 v7, v7, v12
	v_sub_f32_e32 v3, v3, v2
	;; [unrolled: 1-line block ×4, first 2 shown]
	v_add_f32_e32 v4, v0, v6
	v_add_f32_e32 v5, v1, v8
	v_mul_f32_e32 v0, 0x3f4a47b2, v9
	v_mul_f32_e32 v1, 0x3f4a47b2, v11
	;; [unrolled: 1-line block ×6, first 2 shown]
	v_add_f32_e32 v12, v18, v12
	v_add_f32_e32 v2, v19, v2
	v_mul_f32_e32 v18, 0xbf5ff5aa, v7
	v_mul_f32_e32 v19, 0xbf5ff5aa, v3
	v_fmamk_f32 v6, v6, 0xbf955555, v4
	v_fmamk_f32 v8, v8, 0xbf955555, v5
	;; [unrolled: 1-line block ×4, first 2 shown]
	v_fma_f32 v9, 0x3f3bfb3b, v16, -v9
	v_fma_f32 v11, 0x3f3bfb3b, v17, -v11
	v_fma_f32 v0, 0xbf3bfb3b, v16, -v0
	v_fma_f32 v1, 0xbf3bfb3b, v17, -v1
	v_fmamk_f32 v16, v31, 0xbeae86e6, v14
	v_fmamk_f32 v17, v34, 0xbeae86e6, v15
	v_fma_f32 v14, 0xbf5ff5aa, v7, -v14
	v_fma_f32 v3, 0xbf5ff5aa, v3, -v15
	;; [unrolled: 1-line block ×4, first 2 shown]
	v_add_f32_e32 v19, v10, v6
	v_add_f32_e32 v13, v13, v8
	v_fmac_f32_e32 v16, 0xbee1c552, v12
	v_fmac_f32_e32 v17, 0xbee1c552, v2
	v_add_f32_e32 v29, v9, v6
	v_add_f32_e32 v30, v11, v8
	;; [unrolled: 1-line block ×4, first 2 shown]
	v_fmac_f32_e32 v14, 0xbee1c552, v12
	v_fmac_f32_e32 v18, 0xbee1c552, v2
	v_fmac_f32_e32 v15, 0xbee1c552, v12
	v_fmac_f32_e32 v3, 0xbee1c552, v2
	v_add_f32_e32 v6, v17, v19
	v_sub_f32_e32 v7, v13, v16
	v_add_f32_e32 v8, v18, v31
	v_sub_f32_e32 v9, v34, v15
	v_sub_f32_e32 v10, v29, v3
	v_add_f32_e32 v11, v14, v30
	v_add_f32_e32 v0, v3, v29
	v_sub_f32_e32 v1, v30, v14
	v_sub_f32_e32 v2, v31, v18
	v_add_f32_e32 v3, v15, v34
	v_sub_f32_e32 v30, v19, v17
	v_add_f32_e32 v31, v16, v13
	ds_write2_b64 v61, v[4:5], v[6:7] offset1:13
	ds_write2_b64 v61, v[8:9], v[10:11] offset0:26 offset1:39
	ds_write2_b64 v61, v[0:1], v[2:3] offset0:52 offset1:65
	ds_write_b64 v61, v[30:31] offset:624
	s_waitcnt lgkmcnt(0)
	s_barrier
	buffer_gl0_inv
	ds_read2_b64 v[4:7], v57 offset1:91
	ds_read2_b64 v[8:11], v28 offset0:54 offset1:145
	s_and_saveexec_b32 s1, s0
	s_cbranch_execz .LBB0_19
; %bb.18:
	ds_read2_b64 v[0:3], v57 offset0:52 offset1:143
	ds_read2_b64 v[30:33], v28 offset0:106 offset1:197
.LBB0_19:
	s_or_b32 exec_lo, exec_lo, s1
	s_waitcnt lgkmcnt(1)
	v_mul_f32_e32 v12, v25, v7
	v_mul_f32_e32 v13, v25, v6
	s_waitcnt lgkmcnt(0)
	v_mul_f32_e32 v14, v27, v9
	v_mul_f32_e32 v15, v27, v8
	;; [unrolled: 1-line block ×3, first 2 shown]
	v_fmac_f32_e32 v12, v24, v6
	v_mul_f32_e32 v6, v52, v10
	v_fma_f32 v7, v24, v7, -v13
	v_fmac_f32_e32 v14, v26, v8
	v_fmac_f32_e32 v16, v51, v10
	v_fma_f32 v8, v26, v9, -v15
	v_fma_f32 v6, v51, v11, -v6
	v_sub_f32_e32 v9, v4, v14
	v_sub_f32_e32 v10, v12, v16
	;; [unrolled: 1-line block ×4, first 2 shown]
	v_fma_f32 v13, v4, 2.0, -v9
	v_fma_f32 v8, v12, 2.0, -v10
	;; [unrolled: 1-line block ×4, first 2 shown]
	v_add_f32_e32 v4, v9, v6
	v_sub_f32_e32 v5, v11, v10
	v_sub_f32_e32 v6, v13, v8
	;; [unrolled: 1-line block ×3, first 2 shown]
	v_fma_f32 v8, v9, 2.0, -v4
	v_fma_f32 v9, v11, 2.0, -v5
	;; [unrolled: 1-line block ×4, first 2 shown]
	ds_write2_b64 v57, v[10:11], v[8:9] offset1:91
	ds_write2_b64 v28, v[6:7], v[4:5] offset0:54 offset1:145
	s_and_saveexec_b32 s1, s0
	s_cbranch_execz .LBB0_21
; %bb.20:
	v_mul_f32_e32 v4, v23, v30
	v_mul_f32_e32 v5, v21, v3
	;; [unrolled: 1-line block ×6, first 2 shown]
	v_fma_f32 v4, v22, v31, -v4
	v_fmac_f32_e32 v5, v20, v2
	v_fma_f32 v2, v20, v3, -v7
	v_fma_f32 v3, v49, v33, -v8
	v_fmac_f32_e32 v6, v22, v30
	v_fmac_f32_e32 v9, v49, v32
	v_sub_f32_e32 v4, v1, v4
	v_sub_f32_e32 v3, v2, v3
	;; [unrolled: 1-line block ×4, first 2 shown]
	v_fma_f32 v8, v1, 2.0, -v4
	v_fma_f32 v2, v2, 2.0, -v3
	;; [unrolled: 1-line block ×4, first 2 shown]
	v_sub_f32_e32 v1, v4, v7
	v_add_f32_e32 v0, v6, v3
	v_sub_f32_e32 v3, v8, v2
	v_sub_f32_e32 v2, v9, v5
	v_fma_f32 v5, v4, 2.0, -v1
	v_fma_f32 v4, v6, 2.0, -v0
	v_fma_f32 v7, v8, 2.0, -v3
	v_add_nc_u32_e32 v8, 0x400, v57
	v_fma_f32 v6, v9, 2.0, -v2
	ds_write2_b64 v57, v[6:7], v[4:5] offset0:52 offset1:143
	ds_write2_b64 v8, v[2:3], v[0:1] offset0:106 offset1:197
.LBB0_21:
	s_or_b32 exec_lo, exec_lo, s1
	s_waitcnt lgkmcnt(0)
	s_barrier
	buffer_gl0_inv
	s_and_b32 exec_lo, exec_lo, vcc_lo
	s_cbranch_execz .LBB0_23
; %bb.22:
	v_add_co_u32 v0, s0, s14, v57
	v_add_co_ci_u32_e64 v1, null, s15, 0, s0
	s_clause 0x9
	global_load_dwordx2 v[24:25], v57, s[14:15]
	global_load_dwordx2 v[26:27], v57, s[14:15] offset:224
	global_load_dwordx2 v[28:29], v57, s[14:15] offset:448
	;; [unrolled: 1-line block ×9, first 2 shown]
	v_add_co_u32 v0, vcc_lo, 0x800, v0
	v_add_co_ci_u32_e32 v1, vcc_lo, 0, v1, vcc_lo
	v_mad_u64_u32 v[2:3], null, s4, v59, 0
	s_mul_i32 s0, s5, 0xe0
	s_clause 0x2
	global_load_dwordx2 v[44:45], v[0:1], off offset:192
	global_load_dwordx2 v[47:48], v[0:1], off offset:416
	;; [unrolled: 1-line block ×3, first 2 shown]
	v_mad_u64_u32 v[0:1], null, s6, v46, 0
	s_mul_hi_u32 s1, s4, 0xe0
	s_mul_i32 s2, s4, 0xe0
	s_add_i32 s3, s1, s0
	v_mad_u64_u32 v[67:68], null, s4, v58, 0
	v_add_nc_u32_e32 v16, 0x400, v57
	v_mad_u64_u32 v[4:5], null, s7, v46, v[1:2]
	v_add_nc_u32_e32 v20, 0x800, v57
	s_mov_b32 s0, 0x16816817
	s_mov_b32 s1, 0x3f668168
	v_mad_u64_u32 v[5:6], null, s5, v59, v[3:4]
	v_mov_b32_e32 v1, v4
	v_mov_b32_e32 v4, v68
	v_lshlrev_b64 v[0:1], 3, v[0:1]
	v_mov_b32_e32 v3, v5
	v_mad_u64_u32 v[12:13], null, s5, v58, v[4:5]
	v_add_co_u32 v77, vcc_lo, s12, v0
	v_lshlrev_b64 v[2:3], 3, v[2:3]
	v_add_co_ci_u32_e32 v78, vcc_lo, s13, v1, vcc_lo
	v_mov_b32_e32 v68, v12
	v_add_co_u32 v51, vcc_lo, v77, v2
	v_add_co_ci_u32_e32 v52, vcc_lo, v78, v3, vcc_lo
	ds_read_b64 v[73:74], v57
	ds_read2_b64 v[0:3], v57 offset0:28 offset1:56
	v_add_co_u32 v53, vcc_lo, v51, s2
	v_add_co_ci_u32_e32 v54, vcc_lo, s3, v52, vcc_lo
	ds_read2_b64 v[4:7], v57 offset0:84 offset1:112
	v_add_co_u32 v55, vcc_lo, v53, s2
	v_add_co_ci_u32_e32 v56, vcc_lo, s3, v54, vcc_lo
	v_add_co_u32 v59, vcc_lo, v55, s2
	v_add_co_ci_u32_e32 v60, vcc_lo, s3, v56, vcc_lo
	;; [unrolled: 2-line block ×6, first 2 shown]
	v_mad_u64_u32 v[71:72], null, 0x1c0, s4, v[69:70]
	v_mov_b32_e32 v8, v72
	v_mad_u64_u32 v[75:76], null, 0x1c0, s5, v[8:9]
	ds_read2_b64 v[8:11], v57 offset0:140 offset1:168
	ds_read2_b64 v[12:15], v57 offset0:196 offset1:224
	;; [unrolled: 1-line block ×4, first 2 shown]
	v_lshlrev_b64 v[57:58], 3, v[67:68]
	v_add_co_u32 v67, vcc_lo, v71, s2
	v_mov_b32_e32 v72, v75
	v_add_co_ci_u32_e32 v68, vcc_lo, s3, v72, vcc_lo
	s_waitcnt vmcnt(12) lgkmcnt(6)
	v_mul_f32_e32 v46, v74, v25
	v_mul_f32_e32 v25, v73, v25
	s_waitcnt vmcnt(11) lgkmcnt(5)
	v_mul_f32_e32 v75, v1, v27
	v_mul_f32_e32 v27, v0, v27
	s_waitcnt vmcnt(10)
	v_mul_f32_e32 v76, v3, v29
	v_mul_f32_e32 v29, v2, v29
	s_waitcnt vmcnt(9) lgkmcnt(4)
	v_mul_f32_e32 v79, v5, v31
	v_mul_f32_e32 v31, v4, v31
	s_waitcnt vmcnt(8)
	v_mul_f32_e32 v80, v7, v33
	v_mul_f32_e32 v33, v6, v33
	s_waitcnt vmcnt(7) lgkmcnt(3)
	v_mul_f32_e32 v81, v9, v35
	v_mul_f32_e32 v35, v8, v35
	v_fmac_f32_e32 v46, v73, v24
	v_fma_f32 v24, v24, v74, -v25
	s_waitcnt vmcnt(6)
	v_mul_f32_e32 v82, v11, v37
	v_mul_f32_e32 v37, v10, v37
	v_fmac_f32_e32 v75, v0, v26
	v_fma_f32 v25, v26, v1, -v27
	s_waitcnt vmcnt(5) lgkmcnt(2)
	v_mul_f32_e32 v83, v13, v39
	v_mul_f32_e32 v39, v12, v39
	v_fmac_f32_e32 v76, v2, v28
	v_fma_f32 v26, v28, v3, -v29
	s_waitcnt vmcnt(4)
	v_mul_f32_e32 v84, v15, v41
	v_mul_f32_e32 v41, v14, v41
	v_fmac_f32_e32 v79, v4, v30
	v_fma_f32 v27, v30, v5, -v31
	s_waitcnt vmcnt(3) lgkmcnt(1)
	v_mul_f32_e32 v85, v17, v43
	v_mul_f32_e32 v43, v16, v43
	v_fmac_f32_e32 v80, v6, v32
	v_fma_f32 v28, v32, v7, -v33
	v_fmac_f32_e32 v81, v8, v34
	v_fma_f32 v29, v34, v9, -v35
	v_cvt_f64_f32_e32 v[0:1], v46
	v_cvt_f64_f32_e32 v[2:3], v24
	s_waitcnt vmcnt(2)
	v_mul_f32_e32 v46, v19, v45
	v_mul_f32_e32 v45, v18, v45
	v_fmac_f32_e32 v82, v10, v36
	v_fma_f32 v32, v36, v11, -v37
	v_cvt_f64_f32_e32 v[4:5], v75
	v_cvt_f64_f32_e32 v[6:7], v25
	s_waitcnt vmcnt(1) lgkmcnt(0)
	v_mul_f32_e32 v75, v21, v48
	v_mul_f32_e32 v48, v20, v48
	v_fmac_f32_e32 v83, v12, v38
	v_fma_f32 v36, v38, v13, -v39
	v_cvt_f64_f32_e32 v[8:9], v76
	v_cvt_f64_f32_e32 v[10:11], v26
	s_waitcnt vmcnt(0)
	v_mul_f32_e32 v76, v23, v50
	v_mul_f32_e32 v50, v22, v50
	v_fmac_f32_e32 v84, v14, v40
	v_fma_f32 v40, v40, v15, -v41
	v_cvt_f64_f32_e32 v[12:13], v79
	v_cvt_f64_f32_e32 v[14:15], v27
	v_fmac_f32_e32 v85, v16, v42
	v_fma_f32 v73, v42, v17, -v43
	v_cvt_f64_f32_e32 v[16:17], v80
	v_cvt_f64_f32_e32 v[24:25], v28
	v_cvt_f64_f32_e32 v[26:27], v81
	v_cvt_f64_f32_e32 v[28:29], v29
	v_fmac_f32_e32 v46, v18, v44
	v_fma_f32 v44, v44, v19, -v45
	v_cvt_f64_f32_e32 v[30:31], v82
	v_cvt_f64_f32_e32 v[32:33], v32
	v_fmac_f32_e32 v75, v20, v47
	v_fma_f32 v45, v47, v21, -v48
	v_cvt_f64_f32_e32 v[34:35], v83
	v_cvt_f64_f32_e32 v[36:37], v36
	v_fmac_f32_e32 v76, v22, v49
	v_fma_f32 v48, v49, v23, -v50
	v_cvt_f64_f32_e32 v[38:39], v84
	v_cvt_f64_f32_e32 v[40:41], v40
	v_cvt_f64_f32_e32 v[42:43], v85
	v_cvt_f64_f32_e32 v[73:74], v73
	v_cvt_f64_f32_e32 v[18:19], v46
	v_cvt_f64_f32_e32 v[20:21], v44
	v_cvt_f64_f32_e32 v[22:23], v75
	v_cvt_f64_f32_e32 v[44:45], v45
	v_cvt_f64_f32_e32 v[46:47], v76
	v_cvt_f64_f32_e32 v[48:49], v48
	v_mul_f64 v[0:1], v[0:1], s[0:1]
	v_mul_f64 v[2:3], v[2:3], s[0:1]
	;; [unrolled: 1-line block ×26, first 2 shown]
	v_cvt_f32_f64_e32 v0, v[0:1]
	v_cvt_f32_f64_e32 v1, v[2:3]
	;; [unrolled: 1-line block ×26, first 2 shown]
	v_add_co_u32 v26, vcc_lo, v67, s2
	v_add_co_ci_u32_e32 v27, vcc_lo, s3, v68, vcc_lo
	v_add_co_u32 v28, vcc_lo, v77, v57
	v_add_co_ci_u32_e32 v29, vcc_lo, v78, v58, vcc_lo
	;; [unrolled: 2-line block ×3, first 2 shown]
	global_store_dwordx2 v[51:52], v[0:1], off
	global_store_dwordx2 v[53:54], v[2:3], off
	;; [unrolled: 1-line block ×13, first 2 shown]
.LBB0_23:
	s_endpgm
	.section	.rodata,"a",@progbits
	.p2align	6, 0x0
	.amdhsa_kernel bluestein_single_fwd_len364_dim1_sp_op_CI_CI
		.amdhsa_group_segment_fixed_size 2912
		.amdhsa_private_segment_fixed_size 0
		.amdhsa_kernarg_size 104
		.amdhsa_user_sgpr_count 6
		.amdhsa_user_sgpr_private_segment_buffer 1
		.amdhsa_user_sgpr_dispatch_ptr 0
		.amdhsa_user_sgpr_queue_ptr 0
		.amdhsa_user_sgpr_kernarg_segment_ptr 1
		.amdhsa_user_sgpr_dispatch_id 0
		.amdhsa_user_sgpr_flat_scratch_init 0
		.amdhsa_user_sgpr_private_segment_size 0
		.amdhsa_wavefront_size32 1
		.amdhsa_uses_dynamic_stack 0
		.amdhsa_system_sgpr_private_segment_wavefront_offset 0
		.amdhsa_system_sgpr_workgroup_id_x 1
		.amdhsa_system_sgpr_workgroup_id_y 0
		.amdhsa_system_sgpr_workgroup_id_z 0
		.amdhsa_system_sgpr_workgroup_info 0
		.amdhsa_system_vgpr_workitem_id 0
		.amdhsa_next_free_vgpr 145
		.amdhsa_next_free_sgpr 16
		.amdhsa_reserve_vcc 1
		.amdhsa_reserve_flat_scratch 0
		.amdhsa_float_round_mode_32 0
		.amdhsa_float_round_mode_16_64 0
		.amdhsa_float_denorm_mode_32 3
		.amdhsa_float_denorm_mode_16_64 3
		.amdhsa_dx10_clamp 1
		.amdhsa_ieee_mode 1
		.amdhsa_fp16_overflow 0
		.amdhsa_workgroup_processor_mode 1
		.amdhsa_memory_ordered 1
		.amdhsa_forward_progress 0
		.amdhsa_shared_vgpr_count 0
		.amdhsa_exception_fp_ieee_invalid_op 0
		.amdhsa_exception_fp_denorm_src 0
		.amdhsa_exception_fp_ieee_div_zero 0
		.amdhsa_exception_fp_ieee_overflow 0
		.amdhsa_exception_fp_ieee_underflow 0
		.amdhsa_exception_fp_ieee_inexact 0
		.amdhsa_exception_int_div_zero 0
	.end_amdhsa_kernel
	.text
.Lfunc_end0:
	.size	bluestein_single_fwd_len364_dim1_sp_op_CI_CI, .Lfunc_end0-bluestein_single_fwd_len364_dim1_sp_op_CI_CI
                                        ; -- End function
	.section	.AMDGPU.csdata,"",@progbits
; Kernel info:
; codeLenInByte = 11676
; NumSgprs: 18
; NumVgprs: 145
; ScratchSize: 0
; MemoryBound: 0
; FloatMode: 240
; IeeeMode: 1
; LDSByteSize: 2912 bytes/workgroup (compile time only)
; SGPRBlocks: 2
; VGPRBlocks: 18
; NumSGPRsForWavesPerEU: 18
; NumVGPRsForWavesPerEU: 145
; Occupancy: 6
; WaveLimiterHint : 1
; COMPUTE_PGM_RSRC2:SCRATCH_EN: 0
; COMPUTE_PGM_RSRC2:USER_SGPR: 6
; COMPUTE_PGM_RSRC2:TRAP_HANDLER: 0
; COMPUTE_PGM_RSRC2:TGID_X_EN: 1
; COMPUTE_PGM_RSRC2:TGID_Y_EN: 0
; COMPUTE_PGM_RSRC2:TGID_Z_EN: 0
; COMPUTE_PGM_RSRC2:TIDIG_COMP_CNT: 0
	.text
	.p2alignl 6, 3214868480
	.fill 48, 4, 3214868480
	.type	__hip_cuid_ff6fd19fd346991b,@object ; @__hip_cuid_ff6fd19fd346991b
	.section	.bss,"aw",@nobits
	.globl	__hip_cuid_ff6fd19fd346991b
__hip_cuid_ff6fd19fd346991b:
	.byte	0                               ; 0x0
	.size	__hip_cuid_ff6fd19fd346991b, 1

	.ident	"AMD clang version 19.0.0git (https://github.com/RadeonOpenCompute/llvm-project roc-6.4.0 25133 c7fe45cf4b819c5991fe208aaa96edf142730f1d)"
	.section	".note.GNU-stack","",@progbits
	.addrsig
	.addrsig_sym __hip_cuid_ff6fd19fd346991b
	.amdgpu_metadata
---
amdhsa.kernels:
  - .args:
      - .actual_access:  read_only
        .address_space:  global
        .offset:         0
        .size:           8
        .value_kind:     global_buffer
      - .actual_access:  read_only
        .address_space:  global
        .offset:         8
        .size:           8
        .value_kind:     global_buffer
      - .actual_access:  read_only
        .address_space:  global
        .offset:         16
        .size:           8
        .value_kind:     global_buffer
      - .actual_access:  read_only
        .address_space:  global
        .offset:         24
        .size:           8
        .value_kind:     global_buffer
      - .actual_access:  read_only
        .address_space:  global
        .offset:         32
        .size:           8
        .value_kind:     global_buffer
      - .offset:         40
        .size:           8
        .value_kind:     by_value
      - .address_space:  global
        .offset:         48
        .size:           8
        .value_kind:     global_buffer
      - .address_space:  global
        .offset:         56
        .size:           8
        .value_kind:     global_buffer
      - .address_space:  global
        .offset:         64
        .size:           8
        .value_kind:     global_buffer
      - .address_space:  global
        .offset:         72
        .size:           8
        .value_kind:     global_buffer
      - .offset:         80
        .size:           4
        .value_kind:     by_value
      - .address_space:  global
        .offset:         88
        .size:           8
        .value_kind:     global_buffer
      - .address_space:  global
        .offset:         96
        .size:           8
        .value_kind:     global_buffer
    .group_segment_fixed_size: 2912
    .kernarg_segment_align: 8
    .kernarg_segment_size: 104
    .language:       OpenCL C
    .language_version:
      - 2
      - 0
    .max_flat_workgroup_size: 52
    .name:           bluestein_single_fwd_len364_dim1_sp_op_CI_CI
    .private_segment_fixed_size: 0
    .sgpr_count:     18
    .sgpr_spill_count: 0
    .symbol:         bluestein_single_fwd_len364_dim1_sp_op_CI_CI.kd
    .uniform_work_group_size: 1
    .uses_dynamic_stack: false
    .vgpr_count:     145
    .vgpr_spill_count: 0
    .wavefront_size: 32
    .workgroup_processor_mode: 1
amdhsa.target:   amdgcn-amd-amdhsa--gfx1030
amdhsa.version:
  - 1
  - 2
...

	.end_amdgpu_metadata
